;; amdgpu-corpus repo=ROCm/hipCUB kind=compiled arch=gfx90a opt=O3
	.text
	.amdgcn_target "amdgcn-amd-amdhsa--gfx90a"
	.amdhsa_code_object_version 6
	.section	.text._Z19sort_keys_segmentedILj256ELj32ELj7ELb0EiN10test_utils7greaterEEvPT3_PKjT4_,"axG",@progbits,_Z19sort_keys_segmentedILj256ELj32ELj7ELb0EiN10test_utils7greaterEEvPT3_PKjT4_,comdat
	.protected	_Z19sort_keys_segmentedILj256ELj32ELj7ELb0EiN10test_utils7greaterEEvPT3_PKjT4_ ; -- Begin function _Z19sort_keys_segmentedILj256ELj32ELj7ELb0EiN10test_utils7greaterEEvPT3_PKjT4_
	.globl	_Z19sort_keys_segmentedILj256ELj32ELj7ELb0EiN10test_utils7greaterEEvPT3_PKjT4_
	.p2align	8
	.type	_Z19sort_keys_segmentedILj256ELj32ELj7ELb0EiN10test_utils7greaterEEvPT3_PKjT4_,@function
_Z19sort_keys_segmentedILj256ELj32ELj7ELb0EiN10test_utils7greaterEEvPT3_PKjT4_: ; @_Z19sort_keys_segmentedILj256ELj32ELj7ELb0EiN10test_utils7greaterEEvPT3_PKjT4_
; %bb.0:
	s_load_dwordx4 s[0:3], s[4:5], 0x0
	v_lshrrev_b32_e32 v14, 5, v0
	v_lshl_or_b32 v0, s6, 3, v14
	v_mov_b32_e32 v1, 0
	v_lshlrev_b64 v[2:3], 2, v[0:1]
	s_waitcnt lgkmcnt(0)
	v_mov_b32_e32 v4, s3
	v_add_co_u32_e32 v2, vcc, s2, v2
	v_addc_co_u32_e32 v3, vcc, v4, v3, vcc
	global_load_dword v10, v[2:3], off
	v_mbcnt_lo_u32_b32 v2, -1, 0
	s_movk_i32 s2, 0xe0
	v_mbcnt_hi_u32_b32 v13, -1, v2
	v_mul_lo_u32 v0, v0, s2
	v_and_b32_e32 v2, 31, v13
	v_lshlrev_b64 v[0:1], 2, v[0:1]
	v_mov_b32_e32 v3, s1
	v_add_co_u32_e32 v0, vcc, s0, v0
	v_mul_u32_u24_e32 v11, 7, v2
	v_addc_co_u32_e32 v1, vcc, v3, v1, vcc
	v_lshlrev_b32_e32 v12, 2, v11
	v_add_co_u32_e32 v8, vcc, v0, v12
	v_addc_co_u32_e32 v9, vcc, 0, v1, vcc
                                        ; implicit-def: $vgpr0_vgpr1_vgpr2_vgpr3_vgpr4_vgpr5_vgpr6
	s_waitcnt vmcnt(0)
	v_cmp_lt_u32_e32 vcc, v11, v10
	s_and_saveexec_b64 s[0:1], vcc
	s_cbranch_execz .LBB0_2
; %bb.1:
	global_load_dword v0, v[8:9], off
.LBB0_2:
	s_or_b64 exec, exec, s[0:1]
	v_add_u32_e32 v7, 1, v11
	v_cmp_lt_u32_e64 s[0:1], v7, v10
	s_and_saveexec_b64 s[2:3], s[0:1]
	s_cbranch_execz .LBB0_4
; %bb.3:
	global_load_dword v1, v[8:9], off offset:4
.LBB0_4:
	s_or_b64 exec, exec, s[2:3]
	v_add_u32_e32 v15, 2, v11
	v_cmp_lt_u32_e64 s[2:3], v15, v10
	s_and_saveexec_b64 s[4:5], s[2:3]
	s_cbranch_execz .LBB0_6
; %bb.5:
	global_load_dword v2, v[8:9], off offset:8
.LBB0_6:
	;; [unrolled: 8-line block ×6, first 2 shown]
	s_or_b64 exec, exec, s[12:13]
	v_cmp_lt_i32_e64 s[20:21], v18, v10
	v_cmp_lt_i32_e64 s[22:23], v19, v10
	v_cmp_lt_i32_e64 s[18:19], v17, v10
	s_or_b64 s[20:21], s[22:23], s[20:21]
	v_cmp_lt_i32_e64 s[16:17], v16, v10
	s_or_b64 s[18:19], s[20:21], s[18:19]
	v_cmp_lt_i32_e64 s[14:15], v15, v10
	;; [unrolled: 2-line block ×3, first 2 shown]
	s_or_b64 s[14:15], s[16:17], s[14:15]
	v_bfrev_b32_e32 v7, 1
	s_or_b64 s[12:13], s[14:15], s[12:13]
	s_waitcnt vmcnt(0)
	v_cndmask_b32_e64 v6, v7, v6, s[22:23]
	v_cndmask_b32_e64 v5, v7, v5, s[20:21]
	v_cndmask_b32_e64 v4, v7, v4, s[18:19]
	v_cndmask_b32_e64 v3, v7, v3, s[16:17]
	v_cndmask_b32_e64 v2, v7, v2, s[14:15]
	v_cndmask_b32_e64 v1, v7, v1, s[12:13]
	v_cmp_lt_i32_e64 s[12:13], v11, v10
	s_and_saveexec_b64 s[14:15], s[12:13]
	s_cbranch_execz .LBB0_16
; %bb.15:
	v_cmp_gt_i32_e64 s[12:13], v1, v0
	v_cndmask_b32_e64 v7, v0, v1, s[12:13]
	v_cndmask_b32_e64 v15, v1, v0, s[12:13]
	v_cmp_gt_i32_e64 s[12:13], v3, v2
	v_max_i32_e32 v16, v1, v0
	v_min_i32_e32 v0, v1, v0
	v_cndmask_b32_e64 v1, v3, v2, s[12:13]
	v_cndmask_b32_e64 v17, v2, v3, s[12:13]
	v_min_i32_e32 v18, v3, v2
	v_max_i32_e32 v2, v3, v2
	v_cmp_gt_i32_e64 s[12:13], v5, v4
	v_cndmask_b32_e64 v3, v5, v4, s[12:13]
	v_cndmask_b32_e64 v19, v4, v5, s[12:13]
	v_min_i32_e32 v20, v5, v4
	v_max_i32_e32 v4, v5, v4
	v_cmp_gt_i32_e64 s[12:13], v2, v0
	v_cndmask_b32_e64 v5, v17, v0, s[12:13]
	v_cndmask_b32_e64 v15, v15, v2, s[12:13]
	v_cmp_gt_i32_e64 s[12:13], v4, v18
	v_cndmask_b32_e64 v19, v19, v18, s[12:13]
	v_cndmask_b32_e64 v1, v1, v4, s[12:13]
	v_cmp_gt_i32_e64 s[12:13], v6, v20
	v_min_i32_e32 v17, v2, v0
	v_max_i32_e32 v0, v2, v0
	v_min_i32_e32 v21, v4, v18
	v_max_i32_e32 v4, v4, v18
	v_cndmask_b32_e64 v18, v6, v20, s[12:13]
	v_cndmask_b32_e64 v3, v3, v6, s[12:13]
	v_cmp_gt_i32_e64 s[12:13], v2, v16
	v_min_i32_e32 v22, v6, v20
	v_max_i32_e32 v6, v6, v20
	v_cndmask_b32_e64 v2, v7, v0, s[12:13]
	v_cndmask_b32_e64 v7, v15, v16, s[12:13]
	;; [unrolled: 1-line block ×4, first 2 shown]
	v_cmp_gt_i32_e64 s[12:13], v4, v17
	v_cndmask_b32_e64 v1, v1, v17, s[12:13]
	v_cndmask_b32_e64 v5, v5, v4, s[12:13]
	v_min_i32_e32 v16, v4, v17
	v_max_i32_e32 v4, v4, v17
	v_cmp_gt_i32_e64 s[12:13], v6, v21
	v_cndmask_b32_e64 v3, v3, v21, s[12:13]
	v_cndmask_b32_e64 v17, v19, v6, s[12:13]
	v_min_i32_e32 v19, v6, v21
	v_max_i32_e32 v6, v6, v21
	v_cmp_gt_i32_e64 s[12:13], v4, v0
	v_cndmask_b32_e64 v5, v5, v0, s[12:13]
	v_cndmask_b32_e64 v7, v7, v4, s[12:13]
	v_cmp_gt_i32_e64 s[12:13], v6, v16
	v_min_i32_e32 v20, v4, v0
	v_max_i32_e32 v0, v4, v0
	v_cndmask_b32_e64 v4, v17, v16, s[12:13]
	v_cndmask_b32_e64 v1, v1, v6, s[12:13]
	v_cmp_lt_i32_e64 s[12:13], v21, v22
	v_min_i32_e32 v17, v6, v16
	v_max_i32_e32 v6, v6, v16
	v_cndmask_b32_e64 v16, v18, v19, s[12:13]
	v_cndmask_b32_e64 v3, v3, v22, s[12:13]
	;; [unrolled: 1-line block ×4, first 2 shown]
	v_cmp_gt_i32_e64 s[12:13], v0, v15
	v_cndmask_b32_e64 v2, v2, v0, s[12:13]
	v_cndmask_b32_e64 v7, v7, v15, s[12:13]
	v_cmp_gt_i32_e64 s[12:13], v6, v20
	v_max_i32_e32 v21, v0, v15
	v_min_i32_e32 v0, v0, v15
	v_cndmask_b32_e64 v1, v1, v20, s[12:13]
	v_cndmask_b32_e64 v5, v5, v6, s[12:13]
	v_min_i32_e32 v15, v6, v20
	v_max_i32_e32 v20, v6, v20
	v_cmp_gt_i32_e64 s[12:13], v19, v17
	v_cndmask_b32_e64 v3, v3, v17, s[12:13]
	v_cndmask_b32_e64 v4, v4, v19, s[12:13]
	v_max_i32_e32 v6, v19, v17
	v_cmp_gt_i32_e64 s[12:13], v20, v0
	v_min_i32_e32 v22, v19, v17
	v_cndmask_b32_e64 v5, v5, v0, s[12:13]
	v_cndmask_b32_e64 v7, v7, v20, s[12:13]
	v_cmp_gt_i32_e64 s[12:13], v6, v15
	v_cndmask_b32_e64 v4, v4, v15, s[12:13]
	v_cndmask_b32_e64 v19, v1, v6, s[12:13]
	v_cmp_gt_i32_e64 s[12:13], v18, v22
	v_min_i32_e32 v17, v20, v0
	v_max_i32_e32 v0, v20, v0
	v_min_i32_e32 v23, v6, v15
	v_max_i32_e32 v15, v6, v15
	v_cndmask_b32_e64 v6, v16, v22, s[12:13]
	v_cndmask_b32_e64 v16, v3, v18, s[12:13]
	v_cmp_gt_i32_e64 s[12:13], v20, v21
	v_max_i32_e32 v18, v18, v22
	v_cndmask_b32_e64 v0, v2, v0, s[12:13]
	v_cndmask_b32_e64 v1, v7, v21, s[12:13]
	v_cmp_gt_i32_e64 s[12:13], v15, v17
	v_cndmask_b32_e64 v3, v19, v17, s[12:13]
	v_cndmask_b32_e64 v2, v5, v15, s[12:13]
	v_cmp_gt_i32_e64 s[12:13], v18, v23
	v_cndmask_b32_e64 v5, v16, v23, s[12:13]
	v_cndmask_b32_e64 v4, v4, v18, s[12:13]
.LBB0_16:
	s_or_b64 exec, exec, s[14:15]
	s_movk_i32 s14, 0x384
	v_mad_u32_u24 v12, v14, s14, v12
	; wave barrier
	ds_write2_b32 v12, v0, v1 offset1:1
	ds_write2_b32 v12, v2, v3 offset0:2 offset1:3
	ds_write2_b32 v12, v4, v5 offset0:4 offset1:5
	ds_write_b32 v12, v6 offset:24
	v_and_b32_e32 v0, 30, v13
	v_mul_u32_u24_e32 v0, 7, v0
	v_and_b32_e32 v1, 1, v13
	v_min_i32_e32 v4, v10, v0
	v_cmp_eq_u32_e64 s[12:13], 1, v1
	v_add_u32_e32 v0, 7, v4
	v_cndmask_b32_e64 v1, 0, 7, s[12:13]
	v_min_i32_e32 v0, v10, v0
	v_min_i32_e32 v2, v10, v1
	v_add_u32_e32 v1, 7, v0
	v_min_i32_e32 v1, v10, v1
	v_sub_u32_e32 v5, v1, v0
	v_lshlrev_b32_e32 v3, 2, v4
	v_mul_u32_u24_e32 v7, 0x384, v14
	v_sub_u32_e32 v6, v0, v4
	v_mad_u32_u24 v3, v14, s14, v3
	v_sub_u32_e32 v14, v2, v5
	v_cmp_ge_i32_e64 s[12:13], v2, v5
	v_cndmask_b32_e64 v5, 0, v14, s[12:13]
	v_min_i32_e32 v6, v2, v6
	v_cmp_lt_i32_e64 s[12:13], v5, v6
	; wave barrier
	s_and_saveexec_b64 s[14:15], s[12:13]
	s_cbranch_execz .LBB0_20
; %bb.17:
	v_lshlrev_b32_e32 v14, 2, v0
	v_lshlrev_b32_e32 v15, 2, v2
	v_add3_u32 v14, v7, v14, v15
	s_mov_b64 s[16:17], 0
.LBB0_18:                               ; =>This Inner Loop Header: Depth=1
	v_sub_u32_e32 v15, v6, v5
	v_lshrrev_b32_e32 v16, 31, v15
	v_add_u32_e32 v15, v15, v16
	v_ashrrev_i32_e32 v15, 1, v15
	v_add_u32_e32 v15, v15, v5
	v_not_b32_e32 v17, v15
	v_lshl_add_u32 v16, v15, 2, v3
	v_lshl_add_u32 v17, v17, 2, v14
	ds_read_b32 v16, v16
	ds_read_b32 v17, v17
	v_add_u32_e32 v18, 1, v15
	s_waitcnt lgkmcnt(0)
	v_cmp_gt_i32_e64 s[12:13], v17, v16
	v_cndmask_b32_e64 v6, v6, v15, s[12:13]
	v_cndmask_b32_e64 v5, v18, v5, s[12:13]
	v_cmp_ge_i32_e64 s[12:13], v5, v6
	s_or_b64 s[16:17], s[12:13], s[16:17]
	s_andn2_b64 exec, exec, s[16:17]
	s_cbranch_execnz .LBB0_18
; %bb.19:
	s_or_b64 exec, exec, s[16:17]
.LBB0_20:
	s_or_b64 exec, exec, s[14:15]
	v_add_u32_e32 v2, v0, v2
	v_sub_u32_e32 v6, v2, v5
	v_lshl_add_u32 v16, v5, 2, v3
	v_lshl_add_u32 v15, v6, 2, v7
	ds_read_b32 v2, v16
	ds_read_b32 v3, v15
	v_add_u32_e32 v14, v5, v4
	v_cmp_le_i32_e64 s[14:15], v0, v14
	v_cmp_gt_i32_e64 s[12:13], v1, v6
                                        ; implicit-def: $vgpr4
                                        ; implicit-def: $vgpr5
	s_waitcnt lgkmcnt(0)
	v_cmp_gt_i32_e64 s[16:17], v3, v2
	s_or_b64 s[14:15], s[14:15], s[16:17]
	s_and_b64 s[12:13], s[12:13], s[14:15]
	s_xor_b64 s[14:15], s[12:13], -1
	s_and_saveexec_b64 s[16:17], s[14:15]
	s_xor_b64 s[14:15], exec, s[16:17]
	s_cbranch_execz .LBB0_22
; %bb.21:
	ds_read_b32 v5, v16 offset:4
	v_mov_b32_e32 v4, v3
                                        ; implicit-def: $vgpr15
.LBB0_22:
	s_andn2_saveexec_b64 s[14:15], s[14:15]
	s_cbranch_execz .LBB0_24
; %bb.23:
	ds_read_b32 v4, v15 offset:4
	s_waitcnt lgkmcnt(1)
	v_mov_b32_e32 v5, v2
.LBB0_24:
	s_or_b64 exec, exec, s[14:15]
	v_add_u32_e32 v16, 1, v14
	v_add_u32_e32 v15, 1, v6
	v_cndmask_b32_e64 v16, v16, v14, s[12:13]
	v_cndmask_b32_e64 v15, v6, v15, s[12:13]
	v_cmp_ge_i32_e64 s[16:17], v16, v0
	s_waitcnt lgkmcnt(0)
	v_cmp_gt_i32_e64 s[18:19], v4, v5
	v_cmp_lt_i32_e64 s[14:15], v15, v1
	s_or_b64 s[16:17], s[16:17], s[18:19]
	s_and_b64 s[14:15], s[14:15], s[16:17]
	s_xor_b64 s[16:17], s[14:15], -1
                                        ; implicit-def: $vgpr6
	s_and_saveexec_b64 s[18:19], s[16:17]
	s_xor_b64 s[16:17], exec, s[18:19]
	s_cbranch_execz .LBB0_26
; %bb.25:
	v_lshl_add_u32 v6, v16, 2, v7
	ds_read_b32 v6, v6 offset:4
.LBB0_26:
	s_or_saveexec_b64 s[16:17], s[16:17]
	v_mov_b32_e32 v14, v4
	s_xor_b64 exec, exec, s[16:17]
	s_cbranch_execz .LBB0_28
; %bb.27:
	s_waitcnt lgkmcnt(0)
	v_lshl_add_u32 v6, v15, 2, v7
	ds_read_b32 v14, v6 offset:4
	v_mov_b32_e32 v6, v5
.LBB0_28:
	s_or_b64 exec, exec, s[16:17]
	v_add_u32_e32 v18, 1, v16
	v_add_u32_e32 v17, 1, v15
	v_cndmask_b32_e64 v18, v18, v16, s[14:15]
	v_cndmask_b32_e64 v17, v15, v17, s[14:15]
	v_cmp_ge_i32_e64 s[18:19], v18, v0
	s_waitcnt lgkmcnt(0)
	v_cmp_gt_i32_e64 s[20:21], v14, v6
	v_cmp_lt_i32_e64 s[16:17], v17, v1
	s_or_b64 s[18:19], s[18:19], s[20:21]
	s_and_b64 s[16:17], s[16:17], s[18:19]
	s_xor_b64 s[18:19], s[16:17], -1
                                        ; implicit-def: $vgpr15
	s_and_saveexec_b64 s[20:21], s[18:19]
	s_xor_b64 s[18:19], exec, s[20:21]
	s_cbranch_execz .LBB0_30
; %bb.29:
	v_lshl_add_u32 v15, v18, 2, v7
	ds_read_b32 v15, v15 offset:4
.LBB0_30:
	s_or_saveexec_b64 s[18:19], s[18:19]
	v_mov_b32_e32 v16, v14
	s_xor_b64 exec, exec, s[18:19]
	s_cbranch_execz .LBB0_32
; %bb.31:
	s_waitcnt lgkmcnt(0)
	v_lshl_add_u32 v15, v17, 2, v7
	ds_read_b32 v16, v15 offset:4
	v_mov_b32_e32 v15, v6
.LBB0_32:
	s_or_b64 exec, exec, s[18:19]
	v_add_u32_e32 v20, 1, v18
	v_add_u32_e32 v19, 1, v17
	v_cndmask_b32_e64 v20, v20, v18, s[16:17]
	v_cndmask_b32_e64 v19, v17, v19, s[16:17]
	v_cmp_ge_i32_e64 s[20:21], v20, v0
	s_waitcnt lgkmcnt(0)
	v_cmp_gt_i32_e64 s[22:23], v16, v15
	v_cmp_lt_i32_e64 s[18:19], v19, v1
	s_or_b64 s[20:21], s[20:21], s[22:23]
	s_and_b64 s[18:19], s[18:19], s[20:21]
	s_xor_b64 s[20:21], s[18:19], -1
                                        ; implicit-def: $vgpr17
	s_and_saveexec_b64 s[22:23], s[20:21]
	s_xor_b64 s[20:21], exec, s[22:23]
	s_cbranch_execz .LBB0_34
; %bb.33:
	v_lshl_add_u32 v17, v20, 2, v7
	ds_read_b32 v17, v17 offset:4
.LBB0_34:
	s_or_saveexec_b64 s[20:21], s[20:21]
	v_mov_b32_e32 v18, v16
	s_xor_b64 exec, exec, s[20:21]
	s_cbranch_execz .LBB0_36
; %bb.35:
	s_waitcnt lgkmcnt(0)
	v_lshl_add_u32 v17, v19, 2, v7
	ds_read_b32 v18, v17 offset:4
	v_mov_b32_e32 v17, v15
.LBB0_36:
	s_or_b64 exec, exec, s[20:21]
	v_add_u32_e32 v22, 1, v20
	v_add_u32_e32 v21, 1, v19
	v_cndmask_b32_e64 v22, v22, v20, s[18:19]
	v_cndmask_b32_e64 v21, v19, v21, s[18:19]
	v_cmp_ge_i32_e64 s[22:23], v22, v0
	s_waitcnt lgkmcnt(0)
	v_cmp_gt_i32_e64 s[24:25], v18, v17
	v_cmp_lt_i32_e64 s[20:21], v21, v1
	s_or_b64 s[22:23], s[22:23], s[24:25]
	s_and_b64 s[20:21], s[20:21], s[22:23]
	s_xor_b64 s[22:23], s[20:21], -1
                                        ; implicit-def: $vgpr19
	s_and_saveexec_b64 s[24:25], s[22:23]
	s_xor_b64 s[22:23], exec, s[24:25]
	s_cbranch_execz .LBB0_38
; %bb.37:
	v_lshl_add_u32 v19, v22, 2, v7
	ds_read_b32 v19, v19 offset:4
.LBB0_38:
	s_or_saveexec_b64 s[22:23], s[22:23]
	v_mov_b32_e32 v20, v18
	s_xor_b64 exec, exec, s[22:23]
	s_cbranch_execz .LBB0_40
; %bb.39:
	s_waitcnt lgkmcnt(0)
	v_lshl_add_u32 v19, v21, 2, v7
	ds_read_b32 v20, v19 offset:4
	v_mov_b32_e32 v19, v17
.LBB0_40:
	s_or_b64 exec, exec, s[22:23]
	v_add_u32_e32 v24, 1, v22
	v_add_u32_e32 v23, 1, v21
	v_cndmask_b32_e64 v22, v24, v22, s[20:21]
	v_cndmask_b32_e64 v21, v21, v23, s[20:21]
	v_cmp_ge_i32_e64 s[24:25], v22, v0
	s_waitcnt lgkmcnt(0)
	v_cmp_gt_i32_e64 s[26:27], v20, v19
	v_cmp_lt_i32_e64 s[22:23], v21, v1
	s_or_b64 s[24:25], s[24:25], s[26:27]
	s_and_b64 s[22:23], s[22:23], s[24:25]
	s_xor_b64 s[24:25], s[22:23], -1
                                        ; implicit-def: $vgpr23
	s_and_saveexec_b64 s[26:27], s[24:25]
	s_xor_b64 s[24:25], exec, s[26:27]
	s_cbranch_execz .LBB0_42
; %bb.41:
	v_lshl_add_u32 v23, v22, 2, v7
	ds_read_b32 v23, v23 offset:4
.LBB0_42:
	s_or_saveexec_b64 s[24:25], s[24:25]
	v_mov_b32_e32 v24, v20
	s_xor_b64 exec, exec, s[24:25]
	s_cbranch_execz .LBB0_44
; %bb.43:
	s_waitcnt lgkmcnt(0)
	v_lshl_add_u32 v23, v21, 2, v7
	ds_read_b32 v24, v23 offset:4
	v_mov_b32_e32 v23, v19
.LBB0_44:
	s_or_b64 exec, exec, s[24:25]
	v_cndmask_b32_e64 v19, v19, v20, s[22:23]
	v_add_u32_e32 v20, 1, v21
	v_add_u32_e32 v25, 1, v22
	v_cndmask_b32_e64 v20, v21, v20, s[22:23]
	v_cndmask_b32_e64 v21, v25, v22, s[22:23]
	;; [unrolled: 1-line block ×4, first 2 shown]
	v_cmp_ge_i32_e64 s[14:15], v21, v0
	s_waitcnt lgkmcnt(0)
	v_cmp_gt_i32_e64 s[16:17], v24, v23
	v_cndmask_b32_e64 v2, v2, v3, s[12:13]
	v_cmp_lt_i32_e64 s[12:13], v20, v1
	s_or_b64 s[14:15], s[14:15], s[16:17]
	s_and_b64 s[12:13], s[12:13], s[14:15]
	v_cndmask_b32_e64 v0, v23, v24, s[12:13]
	v_cndmask_b32_e64 v17, v17, v18, s[20:21]
	;; [unrolled: 1-line block ×3, first 2 shown]
	; wave barrier
	ds_write2_b32 v12, v2, v4 offset1:1
	ds_write2_b32 v12, v6, v15 offset0:2 offset1:3
	ds_write2_b32 v12, v17, v19 offset0:4 offset1:5
	ds_write_b32 v12, v0 offset:24
	v_and_b32_e32 v0, 28, v13
	v_mul_u32_u24_e32 v0, 7, v0
	v_min_i32_e32 v4, v10, v0
	v_and_b32_e32 v1, 3, v13
	v_add_u32_e32 v0, 14, v4
	v_mul_u32_u24_e32 v1, 7, v1
	v_min_i32_e32 v0, v10, v0
	v_min_i32_e32 v2, v10, v1
	v_add_u32_e32 v1, 14, v0
	v_min_i32_e32 v1, v10, v1
	v_sub_u32_e32 v5, v1, v0
	v_sub_u32_e32 v6, v0, v4
	;; [unrolled: 1-line block ×3, first 2 shown]
	v_cmp_ge_i32_e64 s[12:13], v2, v5
	v_cndmask_b32_e64 v5, 0, v14, s[12:13]
	v_min_i32_e32 v6, v2, v6
	v_lshl_add_u32 v3, v4, 2, v7
	v_cmp_lt_i32_e64 s[12:13], v5, v6
	; wave barrier
	s_and_saveexec_b64 s[14:15], s[12:13]
	s_cbranch_execz .LBB0_48
; %bb.45:
	v_lshlrev_b32_e32 v14, 2, v0
	v_lshlrev_b32_e32 v15, 2, v2
	v_add3_u32 v14, v7, v14, v15
	s_mov_b64 s[16:17], 0
.LBB0_46:                               ; =>This Inner Loop Header: Depth=1
	v_sub_u32_e32 v15, v6, v5
	v_lshrrev_b32_e32 v16, 31, v15
	v_add_u32_e32 v15, v15, v16
	v_ashrrev_i32_e32 v15, 1, v15
	v_add_u32_e32 v15, v15, v5
	v_not_b32_e32 v17, v15
	v_lshl_add_u32 v16, v15, 2, v3
	v_lshl_add_u32 v17, v17, 2, v14
	ds_read_b32 v16, v16
	ds_read_b32 v17, v17
	v_add_u32_e32 v18, 1, v15
	s_waitcnt lgkmcnt(0)
	v_cmp_gt_i32_e64 s[12:13], v17, v16
	v_cndmask_b32_e64 v6, v6, v15, s[12:13]
	v_cndmask_b32_e64 v5, v18, v5, s[12:13]
	v_cmp_ge_i32_e64 s[12:13], v5, v6
	s_or_b64 s[16:17], s[12:13], s[16:17]
	s_andn2_b64 exec, exec, s[16:17]
	s_cbranch_execnz .LBB0_46
; %bb.47:
	s_or_b64 exec, exec, s[16:17]
.LBB0_48:
	s_or_b64 exec, exec, s[14:15]
	v_add_u32_e32 v2, v0, v2
	v_sub_u32_e32 v6, v2, v5
	v_lshl_add_u32 v16, v5, 2, v3
	v_lshl_add_u32 v15, v6, 2, v7
	ds_read_b32 v2, v16
	ds_read_b32 v3, v15
	v_add_u32_e32 v14, v5, v4
	v_cmp_le_i32_e64 s[14:15], v0, v14
	v_cmp_gt_i32_e64 s[12:13], v1, v6
                                        ; implicit-def: $vgpr4
                                        ; implicit-def: $vgpr5
	s_waitcnt lgkmcnt(0)
	v_cmp_gt_i32_e64 s[16:17], v3, v2
	s_or_b64 s[14:15], s[14:15], s[16:17]
	s_and_b64 s[12:13], s[12:13], s[14:15]
	s_xor_b64 s[14:15], s[12:13], -1
	s_and_saveexec_b64 s[16:17], s[14:15]
	s_xor_b64 s[14:15], exec, s[16:17]
	s_cbranch_execz .LBB0_50
; %bb.49:
	ds_read_b32 v5, v16 offset:4
	v_mov_b32_e32 v4, v3
                                        ; implicit-def: $vgpr15
.LBB0_50:
	s_andn2_saveexec_b64 s[14:15], s[14:15]
	s_cbranch_execz .LBB0_52
; %bb.51:
	ds_read_b32 v4, v15 offset:4
	s_waitcnt lgkmcnt(1)
	v_mov_b32_e32 v5, v2
.LBB0_52:
	s_or_b64 exec, exec, s[14:15]
	v_add_u32_e32 v16, 1, v14
	v_add_u32_e32 v15, 1, v6
	v_cndmask_b32_e64 v16, v16, v14, s[12:13]
	v_cndmask_b32_e64 v15, v6, v15, s[12:13]
	v_cmp_ge_i32_e64 s[16:17], v16, v0
	s_waitcnt lgkmcnt(0)
	v_cmp_gt_i32_e64 s[18:19], v4, v5
	v_cmp_lt_i32_e64 s[14:15], v15, v1
	s_or_b64 s[16:17], s[16:17], s[18:19]
	s_and_b64 s[14:15], s[14:15], s[16:17]
	s_xor_b64 s[16:17], s[14:15], -1
                                        ; implicit-def: $vgpr6
	s_and_saveexec_b64 s[18:19], s[16:17]
	s_xor_b64 s[16:17], exec, s[18:19]
	s_cbranch_execz .LBB0_54
; %bb.53:
	v_lshl_add_u32 v6, v16, 2, v7
	ds_read_b32 v6, v6 offset:4
.LBB0_54:
	s_or_saveexec_b64 s[16:17], s[16:17]
	v_mov_b32_e32 v14, v4
	s_xor_b64 exec, exec, s[16:17]
	s_cbranch_execz .LBB0_56
; %bb.55:
	s_waitcnt lgkmcnt(0)
	v_lshl_add_u32 v6, v15, 2, v7
	ds_read_b32 v14, v6 offset:4
	v_mov_b32_e32 v6, v5
.LBB0_56:
	s_or_b64 exec, exec, s[16:17]
	v_add_u32_e32 v18, 1, v16
	v_add_u32_e32 v17, 1, v15
	v_cndmask_b32_e64 v18, v18, v16, s[14:15]
	v_cndmask_b32_e64 v17, v15, v17, s[14:15]
	v_cmp_ge_i32_e64 s[18:19], v18, v0
	s_waitcnt lgkmcnt(0)
	v_cmp_gt_i32_e64 s[20:21], v14, v6
	v_cmp_lt_i32_e64 s[16:17], v17, v1
	s_or_b64 s[18:19], s[18:19], s[20:21]
	s_and_b64 s[16:17], s[16:17], s[18:19]
	s_xor_b64 s[18:19], s[16:17], -1
                                        ; implicit-def: $vgpr15
	s_and_saveexec_b64 s[20:21], s[18:19]
	s_xor_b64 s[18:19], exec, s[20:21]
	s_cbranch_execz .LBB0_58
; %bb.57:
	v_lshl_add_u32 v15, v18, 2, v7
	ds_read_b32 v15, v15 offset:4
.LBB0_58:
	s_or_saveexec_b64 s[18:19], s[18:19]
	v_mov_b32_e32 v16, v14
	s_xor_b64 exec, exec, s[18:19]
	s_cbranch_execz .LBB0_60
; %bb.59:
	s_waitcnt lgkmcnt(0)
	v_lshl_add_u32 v15, v17, 2, v7
	ds_read_b32 v16, v15 offset:4
	v_mov_b32_e32 v15, v6
.LBB0_60:
	s_or_b64 exec, exec, s[18:19]
	v_add_u32_e32 v20, 1, v18
	v_add_u32_e32 v19, 1, v17
	v_cndmask_b32_e64 v20, v20, v18, s[16:17]
	v_cndmask_b32_e64 v19, v17, v19, s[16:17]
	v_cmp_ge_i32_e64 s[20:21], v20, v0
	s_waitcnt lgkmcnt(0)
	v_cmp_gt_i32_e64 s[22:23], v16, v15
	v_cmp_lt_i32_e64 s[18:19], v19, v1
	s_or_b64 s[20:21], s[20:21], s[22:23]
	s_and_b64 s[18:19], s[18:19], s[20:21]
	s_xor_b64 s[20:21], s[18:19], -1
                                        ; implicit-def: $vgpr17
	s_and_saveexec_b64 s[22:23], s[20:21]
	s_xor_b64 s[20:21], exec, s[22:23]
	s_cbranch_execz .LBB0_62
; %bb.61:
	v_lshl_add_u32 v17, v20, 2, v7
	ds_read_b32 v17, v17 offset:4
.LBB0_62:
	s_or_saveexec_b64 s[20:21], s[20:21]
	v_mov_b32_e32 v18, v16
	s_xor_b64 exec, exec, s[20:21]
	s_cbranch_execz .LBB0_64
; %bb.63:
	s_waitcnt lgkmcnt(0)
	v_lshl_add_u32 v17, v19, 2, v7
	ds_read_b32 v18, v17 offset:4
	v_mov_b32_e32 v17, v15
.LBB0_64:
	s_or_b64 exec, exec, s[20:21]
	v_add_u32_e32 v22, 1, v20
	v_add_u32_e32 v21, 1, v19
	v_cndmask_b32_e64 v22, v22, v20, s[18:19]
	v_cndmask_b32_e64 v21, v19, v21, s[18:19]
	v_cmp_ge_i32_e64 s[22:23], v22, v0
	s_waitcnt lgkmcnt(0)
	v_cmp_gt_i32_e64 s[24:25], v18, v17
	v_cmp_lt_i32_e64 s[20:21], v21, v1
	s_or_b64 s[22:23], s[22:23], s[24:25]
	s_and_b64 s[20:21], s[20:21], s[22:23]
	s_xor_b64 s[22:23], s[20:21], -1
                                        ; implicit-def: $vgpr19
	s_and_saveexec_b64 s[24:25], s[22:23]
	s_xor_b64 s[22:23], exec, s[24:25]
	s_cbranch_execz .LBB0_66
; %bb.65:
	v_lshl_add_u32 v19, v22, 2, v7
	ds_read_b32 v19, v19 offset:4
.LBB0_66:
	s_or_saveexec_b64 s[22:23], s[22:23]
	v_mov_b32_e32 v20, v18
	s_xor_b64 exec, exec, s[22:23]
	s_cbranch_execz .LBB0_68
; %bb.67:
	s_waitcnt lgkmcnt(0)
	v_lshl_add_u32 v19, v21, 2, v7
	ds_read_b32 v20, v19 offset:4
	v_mov_b32_e32 v19, v17
.LBB0_68:
	s_or_b64 exec, exec, s[22:23]
	v_add_u32_e32 v24, 1, v22
	v_add_u32_e32 v23, 1, v21
	v_cndmask_b32_e64 v22, v24, v22, s[20:21]
	v_cndmask_b32_e64 v21, v21, v23, s[20:21]
	v_cmp_ge_i32_e64 s[24:25], v22, v0
	s_waitcnt lgkmcnt(0)
	v_cmp_gt_i32_e64 s[26:27], v20, v19
	v_cmp_lt_i32_e64 s[22:23], v21, v1
	s_or_b64 s[24:25], s[24:25], s[26:27]
	s_and_b64 s[22:23], s[22:23], s[24:25]
	s_xor_b64 s[24:25], s[22:23], -1
                                        ; implicit-def: $vgpr23
	s_and_saveexec_b64 s[26:27], s[24:25]
	s_xor_b64 s[24:25], exec, s[26:27]
	s_cbranch_execz .LBB0_70
; %bb.69:
	v_lshl_add_u32 v23, v22, 2, v7
	ds_read_b32 v23, v23 offset:4
.LBB0_70:
	s_or_saveexec_b64 s[24:25], s[24:25]
	v_mov_b32_e32 v24, v20
	s_xor_b64 exec, exec, s[24:25]
	s_cbranch_execz .LBB0_72
; %bb.71:
	s_waitcnt lgkmcnt(0)
	v_lshl_add_u32 v23, v21, 2, v7
	ds_read_b32 v24, v23 offset:4
	v_mov_b32_e32 v23, v19
.LBB0_72:
	s_or_b64 exec, exec, s[24:25]
	v_cndmask_b32_e64 v19, v19, v20, s[22:23]
	v_add_u32_e32 v20, 1, v21
	v_add_u32_e32 v25, 1, v22
	v_cndmask_b32_e64 v20, v21, v20, s[22:23]
	v_cndmask_b32_e64 v21, v25, v22, s[22:23]
	;; [unrolled: 1-line block ×4, first 2 shown]
	v_cmp_ge_i32_e64 s[14:15], v21, v0
	s_waitcnt lgkmcnt(0)
	v_cmp_gt_i32_e64 s[16:17], v24, v23
	v_cndmask_b32_e64 v2, v2, v3, s[12:13]
	v_cmp_lt_i32_e64 s[12:13], v20, v1
	s_or_b64 s[14:15], s[14:15], s[16:17]
	s_and_b64 s[12:13], s[12:13], s[14:15]
	v_cndmask_b32_e64 v0, v23, v24, s[12:13]
	v_cndmask_b32_e64 v17, v17, v18, s[20:21]
	;; [unrolled: 1-line block ×3, first 2 shown]
	; wave barrier
	ds_write2_b32 v12, v2, v4 offset1:1
	ds_write2_b32 v12, v6, v15 offset0:2 offset1:3
	ds_write2_b32 v12, v17, v19 offset0:4 offset1:5
	ds_write_b32 v12, v0 offset:24
	v_and_b32_e32 v0, 24, v13
	v_mul_u32_u24_e32 v0, 7, v0
	v_min_i32_e32 v4, v10, v0
	v_and_b32_e32 v1, 7, v13
	v_add_u32_e32 v0, 28, v4
	v_mul_u32_u24_e32 v1, 7, v1
	v_min_i32_e32 v0, v10, v0
	v_min_i32_e32 v2, v10, v1
	v_add_u32_e32 v1, 28, v0
	v_min_i32_e32 v1, v10, v1
	v_sub_u32_e32 v5, v1, v0
	v_sub_u32_e32 v6, v0, v4
	;; [unrolled: 1-line block ×3, first 2 shown]
	v_cmp_ge_i32_e64 s[12:13], v2, v5
	v_cndmask_b32_e64 v5, 0, v14, s[12:13]
	v_min_i32_e32 v6, v2, v6
	v_lshl_add_u32 v3, v4, 2, v7
	v_cmp_lt_i32_e64 s[12:13], v5, v6
	; wave barrier
	s_and_saveexec_b64 s[14:15], s[12:13]
	s_cbranch_execz .LBB0_76
; %bb.73:
	v_lshlrev_b32_e32 v14, 2, v0
	v_lshlrev_b32_e32 v15, 2, v2
	v_add3_u32 v14, v7, v14, v15
	s_mov_b64 s[16:17], 0
.LBB0_74:                               ; =>This Inner Loop Header: Depth=1
	v_sub_u32_e32 v15, v6, v5
	v_lshrrev_b32_e32 v16, 31, v15
	v_add_u32_e32 v15, v15, v16
	v_ashrrev_i32_e32 v15, 1, v15
	v_add_u32_e32 v15, v15, v5
	v_not_b32_e32 v17, v15
	v_lshl_add_u32 v16, v15, 2, v3
	v_lshl_add_u32 v17, v17, 2, v14
	ds_read_b32 v16, v16
	ds_read_b32 v17, v17
	v_add_u32_e32 v18, 1, v15
	s_waitcnt lgkmcnt(0)
	v_cmp_gt_i32_e64 s[12:13], v17, v16
	v_cndmask_b32_e64 v6, v6, v15, s[12:13]
	v_cndmask_b32_e64 v5, v18, v5, s[12:13]
	v_cmp_ge_i32_e64 s[12:13], v5, v6
	s_or_b64 s[16:17], s[12:13], s[16:17]
	s_andn2_b64 exec, exec, s[16:17]
	s_cbranch_execnz .LBB0_74
; %bb.75:
	s_or_b64 exec, exec, s[16:17]
.LBB0_76:
	s_or_b64 exec, exec, s[14:15]
	v_add_u32_e32 v2, v0, v2
	v_sub_u32_e32 v6, v2, v5
	v_lshl_add_u32 v16, v5, 2, v3
	v_lshl_add_u32 v15, v6, 2, v7
	ds_read_b32 v2, v16
	ds_read_b32 v3, v15
	v_add_u32_e32 v14, v5, v4
	v_cmp_le_i32_e64 s[14:15], v0, v14
	v_cmp_gt_i32_e64 s[12:13], v1, v6
                                        ; implicit-def: $vgpr4
                                        ; implicit-def: $vgpr5
	s_waitcnt lgkmcnt(0)
	v_cmp_gt_i32_e64 s[16:17], v3, v2
	s_or_b64 s[14:15], s[14:15], s[16:17]
	s_and_b64 s[12:13], s[12:13], s[14:15]
	s_xor_b64 s[14:15], s[12:13], -1
	s_and_saveexec_b64 s[16:17], s[14:15]
	s_xor_b64 s[14:15], exec, s[16:17]
	s_cbranch_execz .LBB0_78
; %bb.77:
	ds_read_b32 v5, v16 offset:4
	v_mov_b32_e32 v4, v3
                                        ; implicit-def: $vgpr15
.LBB0_78:
	s_andn2_saveexec_b64 s[14:15], s[14:15]
	s_cbranch_execz .LBB0_80
; %bb.79:
	ds_read_b32 v4, v15 offset:4
	s_waitcnt lgkmcnt(1)
	v_mov_b32_e32 v5, v2
.LBB0_80:
	s_or_b64 exec, exec, s[14:15]
	v_add_u32_e32 v16, 1, v14
	v_add_u32_e32 v15, 1, v6
	v_cndmask_b32_e64 v16, v16, v14, s[12:13]
	v_cndmask_b32_e64 v15, v6, v15, s[12:13]
	v_cmp_ge_i32_e64 s[16:17], v16, v0
	s_waitcnt lgkmcnt(0)
	v_cmp_gt_i32_e64 s[18:19], v4, v5
	v_cmp_lt_i32_e64 s[14:15], v15, v1
	s_or_b64 s[16:17], s[16:17], s[18:19]
	s_and_b64 s[14:15], s[14:15], s[16:17]
	s_xor_b64 s[16:17], s[14:15], -1
                                        ; implicit-def: $vgpr6
	s_and_saveexec_b64 s[18:19], s[16:17]
	s_xor_b64 s[16:17], exec, s[18:19]
	s_cbranch_execz .LBB0_82
; %bb.81:
	v_lshl_add_u32 v6, v16, 2, v7
	ds_read_b32 v6, v6 offset:4
.LBB0_82:
	s_or_saveexec_b64 s[16:17], s[16:17]
	v_mov_b32_e32 v14, v4
	s_xor_b64 exec, exec, s[16:17]
	s_cbranch_execz .LBB0_84
; %bb.83:
	s_waitcnt lgkmcnt(0)
	v_lshl_add_u32 v6, v15, 2, v7
	ds_read_b32 v14, v6 offset:4
	v_mov_b32_e32 v6, v5
.LBB0_84:
	s_or_b64 exec, exec, s[16:17]
	v_add_u32_e32 v18, 1, v16
	v_add_u32_e32 v17, 1, v15
	v_cndmask_b32_e64 v18, v18, v16, s[14:15]
	v_cndmask_b32_e64 v17, v15, v17, s[14:15]
	v_cmp_ge_i32_e64 s[18:19], v18, v0
	s_waitcnt lgkmcnt(0)
	v_cmp_gt_i32_e64 s[20:21], v14, v6
	v_cmp_lt_i32_e64 s[16:17], v17, v1
	s_or_b64 s[18:19], s[18:19], s[20:21]
	s_and_b64 s[16:17], s[16:17], s[18:19]
	s_xor_b64 s[18:19], s[16:17], -1
                                        ; implicit-def: $vgpr15
	s_and_saveexec_b64 s[20:21], s[18:19]
	s_xor_b64 s[18:19], exec, s[20:21]
	s_cbranch_execz .LBB0_86
; %bb.85:
	v_lshl_add_u32 v15, v18, 2, v7
	ds_read_b32 v15, v15 offset:4
.LBB0_86:
	s_or_saveexec_b64 s[18:19], s[18:19]
	v_mov_b32_e32 v16, v14
	s_xor_b64 exec, exec, s[18:19]
	s_cbranch_execz .LBB0_88
; %bb.87:
	s_waitcnt lgkmcnt(0)
	v_lshl_add_u32 v15, v17, 2, v7
	ds_read_b32 v16, v15 offset:4
	v_mov_b32_e32 v15, v6
.LBB0_88:
	s_or_b64 exec, exec, s[18:19]
	v_add_u32_e32 v20, 1, v18
	v_add_u32_e32 v19, 1, v17
	v_cndmask_b32_e64 v20, v20, v18, s[16:17]
	v_cndmask_b32_e64 v19, v17, v19, s[16:17]
	v_cmp_ge_i32_e64 s[20:21], v20, v0
	s_waitcnt lgkmcnt(0)
	v_cmp_gt_i32_e64 s[22:23], v16, v15
	v_cmp_lt_i32_e64 s[18:19], v19, v1
	s_or_b64 s[20:21], s[20:21], s[22:23]
	s_and_b64 s[18:19], s[18:19], s[20:21]
	s_xor_b64 s[20:21], s[18:19], -1
                                        ; implicit-def: $vgpr17
	s_and_saveexec_b64 s[22:23], s[20:21]
	s_xor_b64 s[20:21], exec, s[22:23]
	s_cbranch_execz .LBB0_90
; %bb.89:
	v_lshl_add_u32 v17, v20, 2, v7
	ds_read_b32 v17, v17 offset:4
.LBB0_90:
	s_or_saveexec_b64 s[20:21], s[20:21]
	v_mov_b32_e32 v18, v16
	s_xor_b64 exec, exec, s[20:21]
	s_cbranch_execz .LBB0_92
; %bb.91:
	s_waitcnt lgkmcnt(0)
	v_lshl_add_u32 v17, v19, 2, v7
	ds_read_b32 v18, v17 offset:4
	v_mov_b32_e32 v17, v15
.LBB0_92:
	s_or_b64 exec, exec, s[20:21]
	v_add_u32_e32 v22, 1, v20
	v_add_u32_e32 v21, 1, v19
	v_cndmask_b32_e64 v22, v22, v20, s[18:19]
	v_cndmask_b32_e64 v21, v19, v21, s[18:19]
	v_cmp_ge_i32_e64 s[22:23], v22, v0
	s_waitcnt lgkmcnt(0)
	v_cmp_gt_i32_e64 s[24:25], v18, v17
	v_cmp_lt_i32_e64 s[20:21], v21, v1
	s_or_b64 s[22:23], s[22:23], s[24:25]
	s_and_b64 s[20:21], s[20:21], s[22:23]
	s_xor_b64 s[22:23], s[20:21], -1
                                        ; implicit-def: $vgpr19
	s_and_saveexec_b64 s[24:25], s[22:23]
	s_xor_b64 s[22:23], exec, s[24:25]
	s_cbranch_execz .LBB0_94
; %bb.93:
	v_lshl_add_u32 v19, v22, 2, v7
	ds_read_b32 v19, v19 offset:4
.LBB0_94:
	s_or_saveexec_b64 s[22:23], s[22:23]
	v_mov_b32_e32 v20, v18
	s_xor_b64 exec, exec, s[22:23]
	s_cbranch_execz .LBB0_96
; %bb.95:
	s_waitcnt lgkmcnt(0)
	v_lshl_add_u32 v19, v21, 2, v7
	ds_read_b32 v20, v19 offset:4
	v_mov_b32_e32 v19, v17
.LBB0_96:
	s_or_b64 exec, exec, s[22:23]
	v_add_u32_e32 v24, 1, v22
	v_add_u32_e32 v23, 1, v21
	v_cndmask_b32_e64 v22, v24, v22, s[20:21]
	v_cndmask_b32_e64 v21, v21, v23, s[20:21]
	v_cmp_ge_i32_e64 s[24:25], v22, v0
	s_waitcnt lgkmcnt(0)
	v_cmp_gt_i32_e64 s[26:27], v20, v19
	v_cmp_lt_i32_e64 s[22:23], v21, v1
	s_or_b64 s[24:25], s[24:25], s[26:27]
	s_and_b64 s[22:23], s[22:23], s[24:25]
	s_xor_b64 s[24:25], s[22:23], -1
                                        ; implicit-def: $vgpr23
	s_and_saveexec_b64 s[26:27], s[24:25]
	s_xor_b64 s[24:25], exec, s[26:27]
	s_cbranch_execz .LBB0_98
; %bb.97:
	v_lshl_add_u32 v23, v22, 2, v7
	ds_read_b32 v23, v23 offset:4
.LBB0_98:
	s_or_saveexec_b64 s[24:25], s[24:25]
	v_mov_b32_e32 v24, v20
	s_xor_b64 exec, exec, s[24:25]
	s_cbranch_execz .LBB0_100
; %bb.99:
	s_waitcnt lgkmcnt(0)
	v_lshl_add_u32 v23, v21, 2, v7
	ds_read_b32 v24, v23 offset:4
	v_mov_b32_e32 v23, v19
.LBB0_100:
	s_or_b64 exec, exec, s[24:25]
	v_cndmask_b32_e64 v19, v19, v20, s[22:23]
	v_add_u32_e32 v20, 1, v21
	v_add_u32_e32 v25, 1, v22
	v_cndmask_b32_e64 v20, v21, v20, s[22:23]
	v_cndmask_b32_e64 v21, v25, v22, s[22:23]
	;; [unrolled: 1-line block ×4, first 2 shown]
	v_cmp_ge_i32_e64 s[14:15], v21, v0
	s_waitcnt lgkmcnt(0)
	v_cmp_gt_i32_e64 s[16:17], v24, v23
	v_cndmask_b32_e64 v2, v2, v3, s[12:13]
	v_cmp_lt_i32_e64 s[12:13], v20, v1
	s_or_b64 s[14:15], s[14:15], s[16:17]
	s_and_b64 s[12:13], s[12:13], s[14:15]
	v_cndmask_b32_e64 v0, v23, v24, s[12:13]
	v_cndmask_b32_e64 v17, v17, v18, s[20:21]
	;; [unrolled: 1-line block ×3, first 2 shown]
	; wave barrier
	ds_write2_b32 v12, v2, v4 offset1:1
	ds_write2_b32 v12, v6, v15 offset0:2 offset1:3
	ds_write2_b32 v12, v17, v19 offset0:4 offset1:5
	ds_write_b32 v12, v0 offset:24
	v_and_b32_e32 v0, 16, v13
	v_mul_u32_u24_e32 v0, 7, v0
	v_min_i32_e32 v4, v10, v0
	v_and_b32_e32 v1, 15, v13
	v_add_u32_e32 v0, 56, v4
	v_mul_u32_u24_e32 v1, 7, v1
	v_min_i32_e32 v0, v10, v0
	v_min_i32_e32 v2, v10, v1
	v_add_u32_e32 v1, 56, v0
	v_min_i32_e32 v1, v10, v1
	v_sub_u32_e32 v5, v1, v0
	v_sub_u32_e32 v6, v0, v4
	;; [unrolled: 1-line block ×3, first 2 shown]
	v_cmp_ge_i32_e64 s[12:13], v2, v5
	v_cndmask_b32_e64 v5, 0, v13, s[12:13]
	v_min_i32_e32 v6, v2, v6
	v_lshl_add_u32 v3, v4, 2, v7
	v_cmp_lt_i32_e64 s[12:13], v5, v6
	; wave barrier
	s_and_saveexec_b64 s[14:15], s[12:13]
	s_cbranch_execz .LBB0_104
; %bb.101:
	v_lshlrev_b32_e32 v13, 2, v0
	v_lshlrev_b32_e32 v14, 2, v2
	v_add3_u32 v13, v7, v13, v14
	s_mov_b64 s[16:17], 0
.LBB0_102:                              ; =>This Inner Loop Header: Depth=1
	v_sub_u32_e32 v14, v6, v5
	v_lshrrev_b32_e32 v15, 31, v14
	v_add_u32_e32 v14, v14, v15
	v_ashrrev_i32_e32 v14, 1, v14
	v_add_u32_e32 v14, v14, v5
	v_not_b32_e32 v16, v14
	v_lshl_add_u32 v15, v14, 2, v3
	v_lshl_add_u32 v16, v16, 2, v13
	ds_read_b32 v15, v15
	ds_read_b32 v16, v16
	v_add_u32_e32 v17, 1, v14
	s_waitcnt lgkmcnt(0)
	v_cmp_gt_i32_e64 s[12:13], v16, v15
	v_cndmask_b32_e64 v6, v6, v14, s[12:13]
	v_cndmask_b32_e64 v5, v17, v5, s[12:13]
	v_cmp_ge_i32_e64 s[12:13], v5, v6
	s_or_b64 s[16:17], s[12:13], s[16:17]
	s_andn2_b64 exec, exec, s[16:17]
	s_cbranch_execnz .LBB0_102
; %bb.103:
	s_or_b64 exec, exec, s[16:17]
.LBB0_104:
	s_or_b64 exec, exec, s[14:15]
	v_add_u32_e32 v2, v0, v2
	v_sub_u32_e32 v6, v2, v5
	v_lshl_add_u32 v15, v5, 2, v3
	v_lshl_add_u32 v14, v6, 2, v7
	ds_read_b32 v2, v15
	ds_read_b32 v3, v14
	v_add_u32_e32 v13, v5, v4
	v_cmp_le_i32_e64 s[14:15], v0, v13
	v_cmp_gt_i32_e64 s[12:13], v1, v6
                                        ; implicit-def: $vgpr4
                                        ; implicit-def: $vgpr5
	s_waitcnt lgkmcnt(0)
	v_cmp_gt_i32_e64 s[16:17], v3, v2
	s_or_b64 s[14:15], s[14:15], s[16:17]
	s_and_b64 s[12:13], s[12:13], s[14:15]
	s_xor_b64 s[14:15], s[12:13], -1
	s_and_saveexec_b64 s[16:17], s[14:15]
	s_xor_b64 s[14:15], exec, s[16:17]
	s_cbranch_execz .LBB0_106
; %bb.105:
	ds_read_b32 v5, v15 offset:4
	v_mov_b32_e32 v4, v3
                                        ; implicit-def: $vgpr14
.LBB0_106:
	s_andn2_saveexec_b64 s[14:15], s[14:15]
	s_cbranch_execz .LBB0_108
; %bb.107:
	ds_read_b32 v4, v14 offset:4
	s_waitcnt lgkmcnt(1)
	v_mov_b32_e32 v5, v2
.LBB0_108:
	s_or_b64 exec, exec, s[14:15]
	v_add_u32_e32 v15, 1, v13
	v_add_u32_e32 v14, 1, v6
	v_cndmask_b32_e64 v15, v15, v13, s[12:13]
	v_cndmask_b32_e64 v14, v6, v14, s[12:13]
	v_cmp_ge_i32_e64 s[16:17], v15, v0
	s_waitcnt lgkmcnt(0)
	v_cmp_gt_i32_e64 s[18:19], v4, v5
	v_cmp_lt_i32_e64 s[14:15], v14, v1
	s_or_b64 s[16:17], s[16:17], s[18:19]
	s_and_b64 s[14:15], s[14:15], s[16:17]
	s_xor_b64 s[16:17], s[14:15], -1
                                        ; implicit-def: $vgpr6
	s_and_saveexec_b64 s[18:19], s[16:17]
	s_xor_b64 s[16:17], exec, s[18:19]
	s_cbranch_execz .LBB0_110
; %bb.109:
	v_lshl_add_u32 v6, v15, 2, v7
	ds_read_b32 v6, v6 offset:4
.LBB0_110:
	s_or_saveexec_b64 s[16:17], s[16:17]
	v_mov_b32_e32 v13, v4
	s_xor_b64 exec, exec, s[16:17]
	s_cbranch_execz .LBB0_112
; %bb.111:
	s_waitcnt lgkmcnt(0)
	v_lshl_add_u32 v6, v14, 2, v7
	ds_read_b32 v13, v6 offset:4
	v_mov_b32_e32 v6, v5
.LBB0_112:
	s_or_b64 exec, exec, s[16:17]
	v_add_u32_e32 v17, 1, v15
	v_add_u32_e32 v16, 1, v14
	v_cndmask_b32_e64 v17, v17, v15, s[14:15]
	v_cndmask_b32_e64 v16, v14, v16, s[14:15]
	v_cmp_ge_i32_e64 s[18:19], v17, v0
	s_waitcnt lgkmcnt(0)
	v_cmp_gt_i32_e64 s[20:21], v13, v6
	v_cmp_lt_i32_e64 s[16:17], v16, v1
	s_or_b64 s[18:19], s[18:19], s[20:21]
	s_and_b64 s[16:17], s[16:17], s[18:19]
	s_xor_b64 s[18:19], s[16:17], -1
                                        ; implicit-def: $vgpr14
	s_and_saveexec_b64 s[20:21], s[18:19]
	s_xor_b64 s[18:19], exec, s[20:21]
	s_cbranch_execz .LBB0_114
; %bb.113:
	v_lshl_add_u32 v14, v17, 2, v7
	ds_read_b32 v14, v14 offset:4
.LBB0_114:
	s_or_saveexec_b64 s[18:19], s[18:19]
	v_mov_b32_e32 v15, v13
	s_xor_b64 exec, exec, s[18:19]
	s_cbranch_execz .LBB0_116
; %bb.115:
	s_waitcnt lgkmcnt(0)
	v_lshl_add_u32 v14, v16, 2, v7
	ds_read_b32 v15, v14 offset:4
	v_mov_b32_e32 v14, v6
.LBB0_116:
	s_or_b64 exec, exec, s[18:19]
	v_add_u32_e32 v19, 1, v17
	v_add_u32_e32 v18, 1, v16
	v_cndmask_b32_e64 v19, v19, v17, s[16:17]
	v_cndmask_b32_e64 v18, v16, v18, s[16:17]
	v_cmp_ge_i32_e64 s[20:21], v19, v0
	s_waitcnt lgkmcnt(0)
	v_cmp_gt_i32_e64 s[22:23], v15, v14
	v_cmp_lt_i32_e64 s[18:19], v18, v1
	s_or_b64 s[20:21], s[20:21], s[22:23]
	s_and_b64 s[18:19], s[18:19], s[20:21]
	s_xor_b64 s[20:21], s[18:19], -1
                                        ; implicit-def: $vgpr16
	s_and_saveexec_b64 s[22:23], s[20:21]
	s_xor_b64 s[20:21], exec, s[22:23]
	s_cbranch_execz .LBB0_118
; %bb.117:
	v_lshl_add_u32 v16, v19, 2, v7
	ds_read_b32 v16, v16 offset:4
.LBB0_118:
	s_or_saveexec_b64 s[20:21], s[20:21]
	v_mov_b32_e32 v17, v15
	s_xor_b64 exec, exec, s[20:21]
	s_cbranch_execz .LBB0_120
; %bb.119:
	s_waitcnt lgkmcnt(0)
	v_lshl_add_u32 v16, v18, 2, v7
	ds_read_b32 v17, v16 offset:4
	v_mov_b32_e32 v16, v14
.LBB0_120:
	s_or_b64 exec, exec, s[20:21]
	v_add_u32_e32 v21, 1, v19
	v_add_u32_e32 v20, 1, v18
	v_cndmask_b32_e64 v21, v21, v19, s[18:19]
	v_cndmask_b32_e64 v20, v18, v20, s[18:19]
	v_cmp_ge_i32_e64 s[22:23], v21, v0
	s_waitcnt lgkmcnt(0)
	v_cmp_gt_i32_e64 s[24:25], v17, v16
	v_cmp_lt_i32_e64 s[20:21], v20, v1
	s_or_b64 s[22:23], s[22:23], s[24:25]
	s_and_b64 s[20:21], s[20:21], s[22:23]
	s_xor_b64 s[22:23], s[20:21], -1
                                        ; implicit-def: $vgpr18
	s_and_saveexec_b64 s[24:25], s[22:23]
	s_xor_b64 s[22:23], exec, s[24:25]
	s_cbranch_execz .LBB0_122
; %bb.121:
	v_lshl_add_u32 v18, v21, 2, v7
	ds_read_b32 v18, v18 offset:4
.LBB0_122:
	s_or_saveexec_b64 s[22:23], s[22:23]
	v_mov_b32_e32 v19, v17
	s_xor_b64 exec, exec, s[22:23]
	s_cbranch_execz .LBB0_124
; %bb.123:
	s_waitcnt lgkmcnt(0)
	v_lshl_add_u32 v18, v20, 2, v7
	ds_read_b32 v19, v18 offset:4
	v_mov_b32_e32 v18, v16
.LBB0_124:
	s_or_b64 exec, exec, s[22:23]
	v_add_u32_e32 v23, 1, v21
	v_add_u32_e32 v22, 1, v20
	v_cndmask_b32_e64 v21, v23, v21, s[20:21]
	v_cndmask_b32_e64 v20, v20, v22, s[20:21]
	v_cmp_ge_i32_e64 s[24:25], v21, v0
	s_waitcnt lgkmcnt(0)
	v_cmp_gt_i32_e64 s[26:27], v19, v18
	v_cmp_lt_i32_e64 s[22:23], v20, v1
	s_or_b64 s[24:25], s[24:25], s[26:27]
	s_and_b64 s[22:23], s[22:23], s[24:25]
	s_xor_b64 s[24:25], s[22:23], -1
                                        ; implicit-def: $vgpr22
	s_and_saveexec_b64 s[26:27], s[24:25]
	s_xor_b64 s[24:25], exec, s[26:27]
	s_cbranch_execz .LBB0_126
; %bb.125:
	v_lshl_add_u32 v22, v21, 2, v7
	ds_read_b32 v22, v22 offset:4
.LBB0_126:
	s_or_saveexec_b64 s[24:25], s[24:25]
	v_mov_b32_e32 v23, v19
	s_xor_b64 exec, exec, s[24:25]
	s_cbranch_execz .LBB0_128
; %bb.127:
	s_waitcnt lgkmcnt(0)
	v_lshl_add_u32 v22, v20, 2, v7
	ds_read_b32 v23, v22 offset:4
	v_mov_b32_e32 v22, v18
.LBB0_128:
	s_or_b64 exec, exec, s[24:25]
	v_cndmask_b32_e64 v18, v18, v19, s[22:23]
	v_add_u32_e32 v19, 1, v20
	v_add_u32_e32 v24, 1, v21
	v_cndmask_b32_e64 v19, v20, v19, s[22:23]
	v_cndmask_b32_e64 v20, v24, v21, s[22:23]
	v_cndmask_b32_e64 v6, v6, v13, s[16:17]
	v_cndmask_b32_e64 v4, v5, v4, s[14:15]
	v_cmp_ge_i32_e64 s[14:15], v20, v0
	s_waitcnt lgkmcnt(0)
	v_cmp_gt_i32_e64 s[16:17], v23, v22
	v_cndmask_b32_e64 v2, v2, v3, s[12:13]
	v_cmp_lt_i32_e64 s[12:13], v19, v1
	s_or_b64 s[14:15], s[14:15], s[16:17]
	s_and_b64 s[12:13], s[12:13], s[14:15]
	v_cndmask_b32_e64 v16, v16, v17, s[20:21]
	v_cndmask_b32_e64 v14, v14, v15, s[18:19]
	;; [unrolled: 1-line block ×3, first 2 shown]
	; wave barrier
	ds_write2_b32 v12, v2, v4 offset1:1
	ds_write2_b32 v12, v6, v14 offset0:2 offset1:3
	ds_write2_b32 v12, v16, v18 offset0:4 offset1:5
	ds_write_b32 v12, v0 offset:24
	v_min_i32_e32 v4, 0, v10
	v_add_u32_e32 v0, 0x70, v4
	v_min_i32_e32 v0, v10, v0
	v_add_u32_e32 v1, 0x70, v0
	v_min_i32_e32 v1, v10, v1
	v_min_i32_e32 v2, v10, v11
	v_sub_u32_e32 v5, v1, v0
	v_sub_u32_e32 v6, v0, v4
	;; [unrolled: 1-line block ×3, first 2 shown]
	v_cmp_ge_i32_e64 s[12:13], v2, v5
	v_cndmask_b32_e64 v5, 0, v10, s[12:13]
	v_min_i32_e32 v6, v2, v6
	v_lshl_add_u32 v3, v4, 2, v7
	v_cmp_lt_i32_e64 s[12:13], v5, v6
	; wave barrier
	s_and_saveexec_b64 s[14:15], s[12:13]
	s_cbranch_execz .LBB0_132
; %bb.129:
	v_lshlrev_b32_e32 v10, 2, v0
	v_lshlrev_b32_e32 v11, 2, v2
	v_add3_u32 v10, v7, v10, v11
	s_mov_b64 s[16:17], 0
.LBB0_130:                              ; =>This Inner Loop Header: Depth=1
	v_sub_u32_e32 v11, v6, v5
	v_lshrrev_b32_e32 v12, 31, v11
	v_add_u32_e32 v11, v11, v12
	v_ashrrev_i32_e32 v11, 1, v11
	v_add_u32_e32 v11, v11, v5
	v_not_b32_e32 v13, v11
	v_lshl_add_u32 v12, v11, 2, v3
	v_lshl_add_u32 v13, v13, 2, v10
	ds_read_b32 v12, v12
	ds_read_b32 v13, v13
	v_add_u32_e32 v14, 1, v11
	s_waitcnt lgkmcnt(0)
	v_cmp_gt_i32_e64 s[12:13], v13, v12
	v_cndmask_b32_e64 v6, v6, v11, s[12:13]
	v_cndmask_b32_e64 v5, v14, v5, s[12:13]
	v_cmp_ge_i32_e64 s[12:13], v5, v6
	s_or_b64 s[16:17], s[12:13], s[16:17]
	s_andn2_b64 exec, exec, s[16:17]
	s_cbranch_execnz .LBB0_130
; %bb.131:
	s_or_b64 exec, exec, s[16:17]
.LBB0_132:
	s_or_b64 exec, exec, s[14:15]
	v_add_u32_e32 v2, v0, v2
	v_sub_u32_e32 v6, v2, v5
	v_lshl_add_u32 v12, v5, 2, v3
	v_lshl_add_u32 v11, v6, 2, v7
	ds_read_b32 v2, v12
	ds_read_b32 v3, v11
	v_add_u32_e32 v10, v5, v4
	v_cmp_le_i32_e64 s[14:15], v0, v10
	v_cmp_gt_i32_e64 s[12:13], v1, v6
                                        ; implicit-def: $vgpr4
                                        ; implicit-def: $vgpr5
	s_waitcnt lgkmcnt(0)
	v_cmp_gt_i32_e64 s[16:17], v3, v2
	s_or_b64 s[14:15], s[14:15], s[16:17]
	s_and_b64 s[12:13], s[12:13], s[14:15]
	s_xor_b64 s[14:15], s[12:13], -1
	s_and_saveexec_b64 s[16:17], s[14:15]
	s_xor_b64 s[14:15], exec, s[16:17]
	s_cbranch_execz .LBB0_134
; %bb.133:
	ds_read_b32 v5, v12 offset:4
	v_mov_b32_e32 v4, v3
                                        ; implicit-def: $vgpr11
.LBB0_134:
	s_andn2_saveexec_b64 s[14:15], s[14:15]
	s_cbranch_execz .LBB0_136
; %bb.135:
	ds_read_b32 v4, v11 offset:4
	s_waitcnt lgkmcnt(1)
	v_mov_b32_e32 v5, v2
.LBB0_136:
	s_or_b64 exec, exec, s[14:15]
	v_add_u32_e32 v12, 1, v10
	v_add_u32_e32 v11, 1, v6
	v_cndmask_b32_e64 v12, v12, v10, s[12:13]
	v_cndmask_b32_e64 v11, v6, v11, s[12:13]
	v_cmp_ge_i32_e64 s[16:17], v12, v0
	s_waitcnt lgkmcnt(0)
	v_cmp_gt_i32_e64 s[18:19], v4, v5
	v_cmp_lt_i32_e64 s[14:15], v11, v1
	s_or_b64 s[16:17], s[16:17], s[18:19]
	s_and_b64 s[14:15], s[14:15], s[16:17]
	s_xor_b64 s[16:17], s[14:15], -1
                                        ; implicit-def: $vgpr6
	s_and_saveexec_b64 s[18:19], s[16:17]
	s_xor_b64 s[16:17], exec, s[18:19]
	s_cbranch_execz .LBB0_138
; %bb.137:
	v_lshl_add_u32 v6, v12, 2, v7
	ds_read_b32 v6, v6 offset:4
.LBB0_138:
	s_or_saveexec_b64 s[16:17], s[16:17]
	v_mov_b32_e32 v10, v4
	s_xor_b64 exec, exec, s[16:17]
	s_cbranch_execz .LBB0_140
; %bb.139:
	s_waitcnt lgkmcnt(0)
	v_lshl_add_u32 v6, v11, 2, v7
	ds_read_b32 v10, v6 offset:4
	v_mov_b32_e32 v6, v5
.LBB0_140:
	s_or_b64 exec, exec, s[16:17]
	v_add_u32_e32 v14, 1, v12
	v_add_u32_e32 v13, 1, v11
	v_cndmask_b32_e64 v14, v14, v12, s[14:15]
	v_cndmask_b32_e64 v13, v11, v13, s[14:15]
	v_cmp_ge_i32_e64 s[18:19], v14, v0
	s_waitcnt lgkmcnt(0)
	v_cmp_gt_i32_e64 s[20:21], v10, v6
	v_cmp_lt_i32_e64 s[16:17], v13, v1
	s_or_b64 s[18:19], s[18:19], s[20:21]
	s_and_b64 s[16:17], s[16:17], s[18:19]
	s_xor_b64 s[18:19], s[16:17], -1
                                        ; implicit-def: $vgpr11
	s_and_saveexec_b64 s[20:21], s[18:19]
	s_xor_b64 s[18:19], exec, s[20:21]
	s_cbranch_execz .LBB0_142
; %bb.141:
	v_lshl_add_u32 v11, v14, 2, v7
	ds_read_b32 v11, v11 offset:4
.LBB0_142:
	s_or_saveexec_b64 s[18:19], s[18:19]
	v_mov_b32_e32 v12, v10
	s_xor_b64 exec, exec, s[18:19]
	s_cbranch_execz .LBB0_144
; %bb.143:
	s_waitcnt lgkmcnt(0)
	v_lshl_add_u32 v11, v13, 2, v7
	ds_read_b32 v12, v11 offset:4
	v_mov_b32_e32 v11, v6
.LBB0_144:
	s_or_b64 exec, exec, s[18:19]
	v_add_u32_e32 v16, 1, v14
	v_add_u32_e32 v15, 1, v13
	v_cndmask_b32_e64 v16, v16, v14, s[16:17]
	v_cndmask_b32_e64 v15, v13, v15, s[16:17]
	v_cmp_ge_i32_e64 s[20:21], v16, v0
	s_waitcnt lgkmcnt(0)
	v_cmp_gt_i32_e64 s[22:23], v12, v11
	v_cmp_lt_i32_e64 s[18:19], v15, v1
	s_or_b64 s[20:21], s[20:21], s[22:23]
	s_and_b64 s[18:19], s[18:19], s[20:21]
	s_xor_b64 s[20:21], s[18:19], -1
                                        ; implicit-def: $vgpr13
	s_and_saveexec_b64 s[22:23], s[20:21]
	s_xor_b64 s[20:21], exec, s[22:23]
	s_cbranch_execz .LBB0_146
; %bb.145:
	v_lshl_add_u32 v13, v16, 2, v7
	ds_read_b32 v13, v13 offset:4
.LBB0_146:
	s_or_saveexec_b64 s[20:21], s[20:21]
	v_mov_b32_e32 v14, v12
	s_xor_b64 exec, exec, s[20:21]
	s_cbranch_execz .LBB0_148
; %bb.147:
	s_waitcnt lgkmcnt(0)
	v_lshl_add_u32 v13, v15, 2, v7
	ds_read_b32 v14, v13 offset:4
	v_mov_b32_e32 v13, v11
.LBB0_148:
	s_or_b64 exec, exec, s[20:21]
	v_add_u32_e32 v18, 1, v16
	v_add_u32_e32 v17, 1, v15
	v_cndmask_b32_e64 v18, v18, v16, s[18:19]
	v_cndmask_b32_e64 v17, v15, v17, s[18:19]
	v_cmp_ge_i32_e64 s[22:23], v18, v0
	s_waitcnt lgkmcnt(0)
	v_cmp_gt_i32_e64 s[24:25], v14, v13
	v_cmp_lt_i32_e64 s[20:21], v17, v1
	s_or_b64 s[22:23], s[22:23], s[24:25]
	s_and_b64 s[20:21], s[20:21], s[22:23]
	s_xor_b64 s[22:23], s[20:21], -1
                                        ; implicit-def: $vgpr15
	s_and_saveexec_b64 s[24:25], s[22:23]
	s_xor_b64 s[22:23], exec, s[24:25]
	s_cbranch_execz .LBB0_150
; %bb.149:
	v_lshl_add_u32 v15, v18, 2, v7
	ds_read_b32 v15, v15 offset:4
.LBB0_150:
	s_or_saveexec_b64 s[22:23], s[22:23]
	v_mov_b32_e32 v16, v14
	s_xor_b64 exec, exec, s[22:23]
	s_cbranch_execz .LBB0_152
; %bb.151:
	s_waitcnt lgkmcnt(0)
	v_lshl_add_u32 v15, v17, 2, v7
	ds_read_b32 v16, v15 offset:4
	v_mov_b32_e32 v15, v13
.LBB0_152:
	s_or_b64 exec, exec, s[22:23]
	v_add_u32_e32 v20, 1, v18
	v_add_u32_e32 v19, 1, v17
	v_cndmask_b32_e64 v21, v20, v18, s[20:21]
	v_cndmask_b32_e64 v17, v17, v19, s[20:21]
	v_cmp_ge_i32_e64 s[24:25], v21, v0
	s_waitcnt lgkmcnt(0)
	v_cmp_gt_i32_e64 s[26:27], v16, v15
	v_cmp_lt_i32_e64 s[22:23], v17, v1
	s_or_b64 s[24:25], s[24:25], s[26:27]
	s_and_b64 s[22:23], s[22:23], s[24:25]
	s_xor_b64 s[24:25], s[22:23], -1
                                        ; implicit-def: $vgpr18
                                        ; implicit-def: $vgpr19
	s_and_saveexec_b64 s[26:27], s[24:25]
	s_xor_b64 s[24:25], exec, s[26:27]
	s_cbranch_execnz .LBB0_162
; %bb.153:
	s_or_saveexec_b64 s[24:25], s[24:25]
	v_mov_b32_e32 v20, v16
	s_xor_b64 exec, exec, s[24:25]
	s_cbranch_execnz .LBB0_163
.LBB0_154:
	s_or_b64 exec, exec, s[24:25]
	s_and_saveexec_b64 s[24:25], vcc
	s_cbranch_execnz .LBB0_164
.LBB0_155:
	s_or_b64 exec, exec, s[24:25]
	s_and_saveexec_b64 s[12:13], s[0:1]
	s_cbranch_execnz .LBB0_165
.LBB0_156:
	s_or_b64 exec, exec, s[12:13]
	s_and_saveexec_b64 s[0:1], s[2:3]
	s_cbranch_execnz .LBB0_166
.LBB0_157:
	s_or_b64 exec, exec, s[0:1]
	s_and_saveexec_b64 s[0:1], s[4:5]
	s_cbranch_execnz .LBB0_167
.LBB0_158:
	s_or_b64 exec, exec, s[0:1]
	s_and_saveexec_b64 s[0:1], s[6:7]
	s_cbranch_execnz .LBB0_168
.LBB0_159:
	s_or_b64 exec, exec, s[0:1]
	s_and_saveexec_b64 s[0:1], s[8:9]
	s_cbranch_execnz .LBB0_169
.LBB0_160:
	s_or_b64 exec, exec, s[0:1]
	s_and_saveexec_b64 s[0:1], s[10:11]
	s_cbranch_execnz .LBB0_170
.LBB0_161:
	s_endpgm
.LBB0_162:
	v_lshl_add_u32 v7, v21, 2, v7
	ds_read_b32 v18, v7 offset:4
	v_add_u32_e32 v19, 1, v21
                                        ; implicit-def: $vgpr21
                                        ; implicit-def: $vgpr7
	s_or_saveexec_b64 s[24:25], s[24:25]
	v_mov_b32_e32 v20, v16
	s_xor_b64 exec, exec, s[24:25]
	s_cbranch_execz .LBB0_154
.LBB0_163:
	v_lshl_add_u32 v7, v17, 2, v7
	ds_read_b32 v20, v7 offset:4
	v_add_u32_e32 v17, 1, v17
	v_mov_b32_e32 v19, v21
	s_waitcnt lgkmcnt(1)
	v_mov_b32_e32 v18, v15
	s_or_b64 exec, exec, s[24:25]
	s_and_saveexec_b64 s[24:25], vcc
	s_cbranch_execz .LBB0_155
.LBB0_164:
	v_cndmask_b32_e64 v2, v2, v3, s[12:13]
	global_store_dword v[8:9], v2, off
	s_or_b64 exec, exec, s[24:25]
	s_and_saveexec_b64 s[12:13], s[0:1]
	s_cbranch_execz .LBB0_156
.LBB0_165:
	v_cndmask_b32_e64 v2, v5, v4, s[14:15]
	global_store_dword v[8:9], v2, off offset:4
	s_or_b64 exec, exec, s[12:13]
	s_and_saveexec_b64 s[0:1], s[2:3]
	s_cbranch_execz .LBB0_157
.LBB0_166:
	v_cndmask_b32_e64 v2, v6, v10, s[16:17]
	global_store_dword v[8:9], v2, off offset:8
	s_or_b64 exec, exec, s[0:1]
	s_and_saveexec_b64 s[0:1], s[4:5]
	s_cbranch_execz .LBB0_158
.LBB0_167:
	v_cndmask_b32_e64 v2, v11, v12, s[18:19]
	global_store_dword v[8:9], v2, off offset:12
	s_or_b64 exec, exec, s[0:1]
	s_and_saveexec_b64 s[0:1], s[6:7]
	s_cbranch_execz .LBB0_159
.LBB0_168:
	v_cndmask_b32_e64 v2, v13, v14, s[20:21]
	global_store_dword v[8:9], v2, off offset:16
	s_or_b64 exec, exec, s[0:1]
	s_and_saveexec_b64 s[0:1], s[8:9]
	s_cbranch_execz .LBB0_160
.LBB0_169:
	v_cndmask_b32_e64 v2, v15, v16, s[22:23]
	global_store_dword v[8:9], v2, off offset:20
	s_or_b64 exec, exec, s[0:1]
	s_and_saveexec_b64 s[0:1], s[10:11]
	s_cbranch_execz .LBB0_161
.LBB0_170:
	v_cmp_ge_i32_e64 s[0:1], v19, v0
	s_waitcnt lgkmcnt(0)
	v_cmp_gt_i32_e64 s[2:3], v20, v18
	v_cmp_lt_i32_e32 vcc, v17, v1
	s_or_b64 s[0:1], s[0:1], s[2:3]
	s_and_b64 vcc, vcc, s[0:1]
	v_cndmask_b32_e32 v0, v18, v20, vcc
	global_store_dword v[8:9], v0, off offset:24
	s_endpgm
	.section	.rodata,"a",@progbits
	.p2align	6, 0x0
	.amdhsa_kernel _Z19sort_keys_segmentedILj256ELj32ELj7ELb0EiN10test_utils7greaterEEvPT3_PKjT4_
		.amdhsa_group_segment_fixed_size 7200
		.amdhsa_private_segment_fixed_size 0
		.amdhsa_kernarg_size 20
		.amdhsa_user_sgpr_count 6
		.amdhsa_user_sgpr_private_segment_buffer 1
		.amdhsa_user_sgpr_dispatch_ptr 0
		.amdhsa_user_sgpr_queue_ptr 0
		.amdhsa_user_sgpr_kernarg_segment_ptr 1
		.amdhsa_user_sgpr_dispatch_id 0
		.amdhsa_user_sgpr_flat_scratch_init 0
		.amdhsa_user_sgpr_kernarg_preload_length 0
		.amdhsa_user_sgpr_kernarg_preload_offset 0
		.amdhsa_user_sgpr_private_segment_size 0
		.amdhsa_uses_dynamic_stack 0
		.amdhsa_system_sgpr_private_segment_wavefront_offset 0
		.amdhsa_system_sgpr_workgroup_id_x 1
		.amdhsa_system_sgpr_workgroup_id_y 0
		.amdhsa_system_sgpr_workgroup_id_z 0
		.amdhsa_system_sgpr_workgroup_info 0
		.amdhsa_system_vgpr_workitem_id 0
		.amdhsa_next_free_vgpr 26
		.amdhsa_next_free_sgpr 28
		.amdhsa_accum_offset 28
		.amdhsa_reserve_vcc 1
		.amdhsa_reserve_flat_scratch 0
		.amdhsa_float_round_mode_32 0
		.amdhsa_float_round_mode_16_64 0
		.amdhsa_float_denorm_mode_32 3
		.amdhsa_float_denorm_mode_16_64 3
		.amdhsa_dx10_clamp 1
		.amdhsa_ieee_mode 1
		.amdhsa_fp16_overflow 0
		.amdhsa_tg_split 0
		.amdhsa_exception_fp_ieee_invalid_op 0
		.amdhsa_exception_fp_denorm_src 0
		.amdhsa_exception_fp_ieee_div_zero 0
		.amdhsa_exception_fp_ieee_overflow 0
		.amdhsa_exception_fp_ieee_underflow 0
		.amdhsa_exception_fp_ieee_inexact 0
		.amdhsa_exception_int_div_zero 0
	.end_amdhsa_kernel
	.section	.text._Z19sort_keys_segmentedILj256ELj32ELj7ELb0EiN10test_utils7greaterEEvPT3_PKjT4_,"axG",@progbits,_Z19sort_keys_segmentedILj256ELj32ELj7ELb0EiN10test_utils7greaterEEvPT3_PKjT4_,comdat
.Lfunc_end0:
	.size	_Z19sort_keys_segmentedILj256ELj32ELj7ELb0EiN10test_utils7greaterEEvPT3_PKjT4_, .Lfunc_end0-_Z19sort_keys_segmentedILj256ELj32ELj7ELb0EiN10test_utils7greaterEEvPT3_PKjT4_
                                        ; -- End function
	.section	.AMDGPU.csdata,"",@progbits
; Kernel info:
; codeLenInByte = 7380
; NumSgprs: 32
; NumVgprs: 26
; NumAgprs: 0
; TotalNumVgprs: 26
; ScratchSize: 0
; MemoryBound: 0
; FloatMode: 240
; IeeeMode: 1
; LDSByteSize: 7200 bytes/workgroup (compile time only)
; SGPRBlocks: 3
; VGPRBlocks: 3
; NumSGPRsForWavesPerEU: 32
; NumVGPRsForWavesPerEU: 26
; AccumOffset: 28
; Occupancy: 8
; WaveLimiterHint : 0
; COMPUTE_PGM_RSRC2:SCRATCH_EN: 0
; COMPUTE_PGM_RSRC2:USER_SGPR: 6
; COMPUTE_PGM_RSRC2:TRAP_HANDLER: 0
; COMPUTE_PGM_RSRC2:TGID_X_EN: 1
; COMPUTE_PGM_RSRC2:TGID_Y_EN: 0
; COMPUTE_PGM_RSRC2:TGID_Z_EN: 0
; COMPUTE_PGM_RSRC2:TIDIG_COMP_CNT: 0
; COMPUTE_PGM_RSRC3_GFX90A:ACCUM_OFFSET: 6
; COMPUTE_PGM_RSRC3_GFX90A:TG_SPLIT: 0
	.section	.text._Z19sort_keys_segmentedILj256ELj8ELj4ELb1ExN10test_utils4lessEEvPT3_PKjT4_,"axG",@progbits,_Z19sort_keys_segmentedILj256ELj8ELj4ELb1ExN10test_utils4lessEEvPT3_PKjT4_,comdat
	.protected	_Z19sort_keys_segmentedILj256ELj8ELj4ELb1ExN10test_utils4lessEEvPT3_PKjT4_ ; -- Begin function _Z19sort_keys_segmentedILj256ELj8ELj4ELb1ExN10test_utils4lessEEvPT3_PKjT4_
	.globl	_Z19sort_keys_segmentedILj256ELj8ELj4ELb1ExN10test_utils4lessEEvPT3_PKjT4_
	.p2align	8
	.type	_Z19sort_keys_segmentedILj256ELj8ELj4ELb1ExN10test_utils4lessEEvPT3_PKjT4_,@function
_Z19sort_keys_segmentedILj256ELj8ELj4ELb1ExN10test_utils4lessEEvPT3_PKjT4_: ; @_Z19sort_keys_segmentedILj256ELj8ELj4ELb1ExN10test_utils4lessEEvPT3_PKjT4_
; %bb.0:
	s_load_dwordx4 s[0:3], s[4:5], 0x0
	v_lshrrev_b32_e32 v10, 3, v0
	v_lshl_or_b32 v0, s6, 5, v10
	v_mov_b32_e32 v1, 0
	v_lshlrev_b64 v[2:3], 2, v[0:1]
	s_waitcnt lgkmcnt(0)
	v_mov_b32_e32 v4, s3
	v_add_co_u32_e32 v2, vcc, s2, v2
	v_addc_co_u32_e32 v3, vcc, v4, v3, vcc
	global_load_dword v18, v[2:3], off
	v_mbcnt_lo_u32_b32 v2, -1, 0
	v_mbcnt_hi_u32_b32 v2, -1, v2
	v_lshlrev_b32_e32 v0, 5, v0
	v_lshlrev_b64 v[0:1], 3, v[0:1]
	v_lshlrev_b32_e32 v22, 2, v2
	v_mov_b32_e32 v3, s1
	v_add_co_u32_e32 v0, vcc, s0, v0
	v_and_b32_e32 v20, 28, v22
	v_addc_co_u32_e32 v1, vcc, v3, v1, vcc
	v_lshlrev_b32_e32 v11, 3, v20
	v_add_co_u32_e32 v8, vcc, v0, v11
	v_addc_co_u32_e32 v9, vcc, 0, v1, vcc
                                        ; implicit-def: $vgpr0_vgpr1_vgpr2_vgpr3_vgpr4_vgpr5_vgpr6_vgpr7
	s_waitcnt vmcnt(0)
	v_cmp_lt_u32_e32 vcc, v20, v18
	s_and_saveexec_b64 s[0:1], vcc
	s_cbranch_execz .LBB1_2
; %bb.1:
	global_load_dwordx2 v[0:1], v[8:9], off
.LBB1_2:
	s_or_b64 exec, exec, s[0:1]
	v_or_b32_e32 v12, 1, v20
	v_cmp_lt_u32_e64 s[0:1], v12, v18
	s_and_saveexec_b64 s[2:3], s[0:1]
	s_cbranch_execz .LBB1_4
; %bb.3:
	global_load_dwordx2 v[2:3], v[8:9], off offset:8
.LBB1_4:
	s_or_b64 exec, exec, s[2:3]
	v_or_b32_e32 v13, 2, v20
	v_cmp_lt_u32_e64 s[2:3], v13, v18
	s_and_saveexec_b64 s[4:5], s[2:3]
	s_cbranch_execz .LBB1_6
; %bb.5:
	global_load_dwordx2 v[4:5], v[8:9], off offset:16
.LBB1_6:
	;; [unrolled: 8-line block ×3, first 2 shown]
	s_or_b64 exec, exec, s[6:7]
	v_cmp_lt_i32_e64 s[8:9], v13, v18
	v_cmp_lt_i32_e64 s[10:11], v14, v18
	;; [unrolled: 1-line block ×3, first 2 shown]
	s_or_b64 s[8:9], s[10:11], s[8:9]
	v_bfrev_b32_e32 v12, -2
	s_or_b64 s[6:7], s[8:9], s[6:7]
	s_waitcnt vmcnt(0)
	v_cndmask_b32_e64 v7, v12, v7, s[10:11]
	v_cndmask_b32_e64 v5, v12, v5, s[8:9]
	v_cndmask_b32_e64 v4, -1, v4, s[8:9]
	v_cndmask_b32_e64 v3, v12, v3, s[6:7]
	v_cndmask_b32_e64 v2, -1, v2, s[6:7]
	v_cndmask_b32_e64 v6, -1, v6, s[10:11]
	v_cmp_lt_i32_e64 s[6:7], v20, v18
	s_and_saveexec_b64 s[10:11], s[6:7]
	s_cbranch_execz .LBB1_10
; %bb.9:
	v_cmp_lt_i64_e64 s[6:7], v[2:3], v[0:1]
	v_cndmask_b32_e64 v16, v2, v0, s[6:7]
	v_cndmask_b32_e64 v17, v3, v1, s[6:7]
	;; [unrolled: 1-line block ×4, first 2 shown]
	v_cmp_gt_i64_e64 s[6:7], v[2:3], v[0:1]
	v_cndmask_b32_e64 v3, v1, v3, s[6:7]
	v_cndmask_b32_e64 v2, v0, v2, s[6:7]
	v_cmp_lt_i64_e64 s[6:7], v[6:7], v[4:5]
	v_cndmask_b32_e64 v1, v5, v7, s[6:7]
	v_cndmask_b32_e64 v0, v4, v6, s[6:7]
	;; [unrolled: 1-line block ×4, first 2 shown]
	v_cmp_gt_i64_e64 s[8:9], v[6:7], v[4:5]
	v_cmp_lt_i64_e64 s[6:7], v[0:1], v[2:3]
	v_cndmask_b32_e64 v15, v5, v7, s[8:9]
	v_cndmask_b32_e64 v14, v4, v6, s[8:9]
	v_cndmask_b32_e64 v23, v1, v3, s[6:7]
	v_cndmask_b32_e64 v24, v0, v2, s[6:7]
	v_cndmask_b32_e64 v4, v17, v1, s[6:7]
	v_cndmask_b32_e64 v5, v16, v0, s[6:7]
	v_cmp_gt_i64_e64 s[8:9], v[0:1], v[2:3]
	v_cndmask_b32_e64 v6, v2, v0, s[6:7]
	v_cndmask_b32_e64 v7, v3, v1, s[6:7]
	v_cmp_lt_i64_e64 s[6:7], v[0:1], v[12:13]
	v_cndmask_b32_e64 v16, v2, v0, s[8:9]
	v_cndmask_b32_e64 v17, v3, v1, s[8:9]
	;; [unrolled: 1-line block ×8, first 2 shown]
	v_cmp_gt_i64_e64 s[6:7], v[2:3], v[14:15]
	v_cndmask_b32_e64 v3, v17, v15, s[6:7]
	v_cndmask_b32_e64 v2, v16, v14, s[6:7]
	;; [unrolled: 1-line block ×6, first 2 shown]
	v_cmp_lt_i64_e64 s[6:7], v[2:3], v[4:5]
	v_cndmask_b32_e64 v5, v13, v5, s[6:7]
	v_cndmask_b32_e64 v4, v12, v4, s[6:7]
	;; [unrolled: 1-line block ×4, first 2 shown]
.LBB1_10:
	s_or_b64 exec, exec, s[10:11]
	s_movk_i32 s6, 0x108
	v_mad_u32_u24 v21, v10, s6, v11
	; wave barrier
	ds_write2_b64 v21, v[0:1], v[2:3] offset1:1
	ds_write2_b64 v21, v[4:5], v[6:7] offset0:2 offset1:3
	v_and_b32_e32 v1, 24, v22
	v_min_i32_e32 v4, v18, v1
	v_add_u32_e32 v1, 4, v4
	v_min_i32_e32 v23, v18, v1
	v_add_u32_e32 v1, 4, v23
	v_and_b32_e32 v0, 4, v22
	v_min_i32_e32 v24, v18, v1
	v_min_i32_e32 v0, v18, v0
	v_sub_u32_e32 v3, v24, v23
	v_lshlrev_b32_e32 v1, 3, v4
	v_sub_u32_e32 v2, v23, v4
	v_mad_u32_u24 v1, v10, s6, v1
	v_sub_u32_e32 v5, v0, v3
	v_cmp_ge_i32_e64 s[6:7], v0, v3
	v_cndmask_b32_e64 v5, 0, v5, s[6:7]
	v_min_i32_e32 v2, v0, v2
	v_mul_u32_u24_e32 v19, 0x108, v10
	v_cmp_lt_i32_e64 s[6:7], v5, v2
	; wave barrier
	s_and_saveexec_b64 s[8:9], s[6:7]
	s_cbranch_execz .LBB1_14
; %bb.11:
	v_lshlrev_b32_e32 v3, 3, v23
	v_lshlrev_b32_e32 v6, 3, v0
	v_add3_u32 v3, v19, v3, v6
	s_mov_b64 s[10:11], 0
.LBB1_12:                               ; =>This Inner Loop Header: Depth=1
	v_sub_u32_e32 v6, v2, v5
	v_lshrrev_b32_e32 v7, 31, v6
	v_add_u32_e32 v6, v6, v7
	v_ashrrev_i32_e32 v6, 1, v6
	v_add_u32_e32 v12, v6, v5
	v_not_b32_e32 v7, v12
	v_lshl_add_u32 v6, v12, 3, v1
	v_lshl_add_u32 v10, v7, 3, v3
	ds_read_b64 v[6:7], v6
	ds_read_b64 v[10:11], v10
	v_add_u32_e32 v13, 1, v12
	s_waitcnt lgkmcnt(0)
	v_cmp_lt_i64_e64 s[6:7], v[10:11], v[6:7]
	v_cndmask_b32_e64 v2, v2, v12, s[6:7]
	v_cndmask_b32_e64 v5, v13, v5, s[6:7]
	v_cmp_ge_i32_e64 s[6:7], v5, v2
	s_or_b64 s[10:11], s[6:7], s[10:11]
	s_andn2_b64 exec, exec, s[10:11]
	s_cbranch_execnz .LBB1_12
; %bb.13:
	s_or_b64 exec, exec, s[10:11]
.LBB1_14:
	s_or_b64 exec, exec, s[8:9]
	v_add_u32_e32 v0, v23, v0
	v_sub_u32_e32 v10, v0, v5
	v_lshl_add_u32 v6, v5, 3, v1
	v_lshl_add_u32 v12, v10, 3, v19
	ds_read_b64 v[0:1], v6
	ds_read_b64 v[2:3], v12
	v_add_u32_e32 v11, v5, v4
	v_cmp_le_i32_e64 s[8:9], v23, v11
	v_cmp_gt_i32_e64 s[6:7], v24, v10
                                        ; implicit-def: $vgpr4_vgpr5
	s_waitcnt lgkmcnt(0)
	v_cmp_lt_i64_e64 s[10:11], v[2:3], v[0:1]
	s_or_b64 s[8:9], s[8:9], s[10:11]
	s_and_b64 s[6:7], s[6:7], s[8:9]
	s_xor_b64 s[8:9], s[6:7], -1
	s_and_saveexec_b64 s[10:11], s[8:9]
	s_xor_b64 s[8:9], exec, s[10:11]
	s_cbranch_execz .LBB1_16
; %bb.15:
	ds_read_b64 v[4:5], v6 offset:8
                                        ; implicit-def: $vgpr12
.LBB1_16:
	s_or_saveexec_b64 s[8:9], s[8:9]
	v_pk_mov_b32 v[6:7], v[2:3], v[2:3] op_sel:[0,1]
	s_xor_b64 exec, exec, s[8:9]
	s_cbranch_execz .LBB1_18
; %bb.17:
	ds_read_b64 v[6:7], v12 offset:8
	s_waitcnt lgkmcnt(1)
	v_pk_mov_b32 v[4:5], v[0:1], v[0:1] op_sel:[0,1]
.LBB1_18:
	s_or_b64 exec, exec, s[8:9]
	v_add_u32_e32 v13, 1, v11
	v_add_u32_e32 v12, 1, v10
	v_cndmask_b32_e64 v15, v13, v11, s[6:7]
	v_cndmask_b32_e64 v14, v10, v12, s[6:7]
	v_cmp_ge_i32_e64 s[10:11], v15, v23
	s_waitcnt lgkmcnt(0)
	v_cmp_lt_i64_e64 s[12:13], v[6:7], v[4:5]
	v_cmp_lt_i32_e64 s[8:9], v14, v24
	s_or_b64 s[10:11], s[10:11], s[12:13]
	s_and_b64 s[8:9], s[8:9], s[10:11]
	s_xor_b64 s[10:11], s[8:9], -1
                                        ; implicit-def: $vgpr10_vgpr11
	s_and_saveexec_b64 s[12:13], s[10:11]
	s_xor_b64 s[10:11], exec, s[12:13]
	s_cbranch_execz .LBB1_20
; %bb.19:
	v_lshl_add_u32 v10, v15, 3, v19
	ds_read_b64 v[10:11], v10 offset:8
.LBB1_20:
	s_or_saveexec_b64 s[10:11], s[10:11]
	v_pk_mov_b32 v[12:13], v[6:7], v[6:7] op_sel:[0,1]
	s_xor_b64 exec, exec, s[10:11]
	s_cbranch_execz .LBB1_22
; %bb.21:
	s_waitcnt lgkmcnt(0)
	v_lshl_add_u32 v10, v14, 3, v19
	ds_read_b64 v[12:13], v10 offset:8
	v_pk_mov_b32 v[10:11], v[4:5], v[4:5] op_sel:[0,1]
.LBB1_22:
	s_or_b64 exec, exec, s[10:11]
	v_add_u32_e32 v17, 1, v15
	v_add_u32_e32 v16, 1, v14
	v_cndmask_b32_e64 v26, v17, v15, s[8:9]
	v_cndmask_b32_e64 v25, v14, v16, s[8:9]
	v_cmp_ge_i32_e64 s[12:13], v26, v23
	s_waitcnt lgkmcnt(0)
	v_cmp_lt_i64_e64 s[14:15], v[12:13], v[10:11]
	v_cmp_lt_i32_e64 s[10:11], v25, v24
	s_or_b64 s[12:13], s[12:13], s[14:15]
	s_and_b64 s[10:11], s[10:11], s[12:13]
	s_xor_b64 s[12:13], s[10:11], -1
                                        ; implicit-def: $vgpr14_vgpr15
	s_and_saveexec_b64 s[14:15], s[12:13]
	s_xor_b64 s[12:13], exec, s[14:15]
	s_cbranch_execz .LBB1_24
; %bb.23:
	v_lshl_add_u32 v14, v26, 3, v19
	ds_read_b64 v[14:15], v14 offset:8
.LBB1_24:
	s_or_saveexec_b64 s[12:13], s[12:13]
	v_pk_mov_b32 v[16:17], v[12:13], v[12:13] op_sel:[0,1]
	s_xor_b64 exec, exec, s[12:13]
	s_cbranch_execz .LBB1_26
; %bb.25:
	s_waitcnt lgkmcnt(0)
	v_lshl_add_u32 v14, v25, 3, v19
	ds_read_b64 v[16:17], v14 offset:8
	v_pk_mov_b32 v[14:15], v[10:11], v[10:11] op_sel:[0,1]
.LBB1_26:
	s_or_b64 exec, exec, s[12:13]
	v_cndmask_b32_e64 v11, v11, v13, s[10:11]
	v_add_u32_e32 v13, 1, v26
	v_cndmask_b32_e64 v10, v10, v12, s[10:11]
	v_add_u32_e32 v12, 1, v25
	v_cndmask_b32_e64 v13, v13, v26, s[10:11]
	v_cndmask_b32_e64 v12, v25, v12, s[10:11]
	;; [unrolled: 1-line block ×4, first 2 shown]
	v_cmp_ge_i32_e64 s[8:9], v13, v23
	s_waitcnt lgkmcnt(0)
	v_cmp_lt_i64_e64 s[10:11], v[16:17], v[14:15]
	v_cndmask_b32_e64 v1, v1, v3, s[6:7]
	v_cndmask_b32_e64 v0, v0, v2, s[6:7]
	v_cmp_lt_i32_e64 s[6:7], v12, v24
	s_or_b64 s[8:9], s[8:9], s[10:11]
	s_and_b64 s[6:7], s[6:7], s[8:9]
	v_cndmask_b32_e64 v3, v15, v17, s[6:7]
	v_cndmask_b32_e64 v2, v14, v16, s[6:7]
	; wave barrier
	ds_write2_b64 v21, v[0:1], v[4:5] offset1:1
	ds_write2_b64 v21, v[10:11], v[2:3] offset0:2 offset1:3
	v_and_b32_e32 v1, 16, v22
	v_min_i32_e32 v4, v18, v1
	v_add_u32_e32 v1, 8, v4
	v_and_b32_e32 v0, 12, v22
	v_min_i32_e32 v22, v18, v1
	v_add_u32_e32 v1, 8, v22
	v_min_i32_e32 v23, v18, v1
	v_min_i32_e32 v0, v18, v0
	v_sub_u32_e32 v3, v23, v22
	v_sub_u32_e32 v2, v22, v4
	v_sub_u32_e32 v5, v0, v3
	v_cmp_ge_i32_e64 s[6:7], v0, v3
	v_cndmask_b32_e64 v5, 0, v5, s[6:7]
	v_min_i32_e32 v2, v0, v2
	v_lshl_add_u32 v1, v4, 3, v19
	v_cmp_lt_i32_e64 s[6:7], v5, v2
	; wave barrier
	s_and_saveexec_b64 s[8:9], s[6:7]
	s_cbranch_execz .LBB1_30
; %bb.27:
	v_lshlrev_b32_e32 v3, 3, v22
	v_lshlrev_b32_e32 v6, 3, v0
	v_add3_u32 v3, v19, v3, v6
	s_mov_b64 s[10:11], 0
.LBB1_28:                               ; =>This Inner Loop Header: Depth=1
	v_sub_u32_e32 v6, v2, v5
	v_lshrrev_b32_e32 v7, 31, v6
	v_add_u32_e32 v6, v6, v7
	v_ashrrev_i32_e32 v6, 1, v6
	v_add_u32_e32 v12, v6, v5
	v_not_b32_e32 v7, v12
	v_lshl_add_u32 v6, v12, 3, v1
	v_lshl_add_u32 v10, v7, 3, v3
	ds_read_b64 v[6:7], v6
	ds_read_b64 v[10:11], v10
	v_add_u32_e32 v13, 1, v12
	s_waitcnt lgkmcnt(0)
	v_cmp_lt_i64_e64 s[6:7], v[10:11], v[6:7]
	v_cndmask_b32_e64 v2, v2, v12, s[6:7]
	v_cndmask_b32_e64 v5, v13, v5, s[6:7]
	v_cmp_ge_i32_e64 s[6:7], v5, v2
	s_or_b64 s[10:11], s[6:7], s[10:11]
	s_andn2_b64 exec, exec, s[10:11]
	s_cbranch_execnz .LBB1_28
; %bb.29:
	s_or_b64 exec, exec, s[10:11]
.LBB1_30:
	s_or_b64 exec, exec, s[8:9]
	v_add_u32_e32 v0, v22, v0
	v_sub_u32_e32 v10, v0, v5
	v_lshl_add_u32 v6, v5, 3, v1
	v_lshl_add_u32 v12, v10, 3, v19
	ds_read_b64 v[0:1], v6
	ds_read_b64 v[2:3], v12
	v_add_u32_e32 v11, v5, v4
	v_cmp_le_i32_e64 s[8:9], v22, v11
	v_cmp_gt_i32_e64 s[6:7], v23, v10
                                        ; implicit-def: $vgpr4_vgpr5
	s_waitcnt lgkmcnt(0)
	v_cmp_lt_i64_e64 s[10:11], v[2:3], v[0:1]
	s_or_b64 s[8:9], s[8:9], s[10:11]
	s_and_b64 s[6:7], s[6:7], s[8:9]
	s_xor_b64 s[8:9], s[6:7], -1
	s_and_saveexec_b64 s[10:11], s[8:9]
	s_xor_b64 s[8:9], exec, s[10:11]
	s_cbranch_execz .LBB1_32
; %bb.31:
	ds_read_b64 v[4:5], v6 offset:8
                                        ; implicit-def: $vgpr12
.LBB1_32:
	s_or_saveexec_b64 s[8:9], s[8:9]
	v_pk_mov_b32 v[6:7], v[2:3], v[2:3] op_sel:[0,1]
	s_xor_b64 exec, exec, s[8:9]
	s_cbranch_execz .LBB1_34
; %bb.33:
	ds_read_b64 v[6:7], v12 offset:8
	s_waitcnt lgkmcnt(1)
	v_pk_mov_b32 v[4:5], v[0:1], v[0:1] op_sel:[0,1]
.LBB1_34:
	s_or_b64 exec, exec, s[8:9]
	v_add_u32_e32 v13, 1, v11
	v_add_u32_e32 v12, 1, v10
	v_cndmask_b32_e64 v15, v13, v11, s[6:7]
	v_cndmask_b32_e64 v14, v10, v12, s[6:7]
	v_cmp_ge_i32_e64 s[10:11], v15, v22
	s_waitcnt lgkmcnt(0)
	v_cmp_lt_i64_e64 s[12:13], v[6:7], v[4:5]
	v_cmp_lt_i32_e64 s[8:9], v14, v23
	s_or_b64 s[10:11], s[10:11], s[12:13]
	s_and_b64 s[8:9], s[8:9], s[10:11]
	s_xor_b64 s[10:11], s[8:9], -1
                                        ; implicit-def: $vgpr10_vgpr11
	s_and_saveexec_b64 s[12:13], s[10:11]
	s_xor_b64 s[10:11], exec, s[12:13]
	s_cbranch_execz .LBB1_36
; %bb.35:
	v_lshl_add_u32 v10, v15, 3, v19
	ds_read_b64 v[10:11], v10 offset:8
.LBB1_36:
	s_or_saveexec_b64 s[10:11], s[10:11]
	v_pk_mov_b32 v[12:13], v[6:7], v[6:7] op_sel:[0,1]
	s_xor_b64 exec, exec, s[10:11]
	s_cbranch_execz .LBB1_38
; %bb.37:
	s_waitcnt lgkmcnt(0)
	v_lshl_add_u32 v10, v14, 3, v19
	ds_read_b64 v[12:13], v10 offset:8
	v_pk_mov_b32 v[10:11], v[4:5], v[4:5] op_sel:[0,1]
.LBB1_38:
	s_or_b64 exec, exec, s[10:11]
	v_add_u32_e32 v17, 1, v15
	v_add_u32_e32 v16, 1, v14
	v_cndmask_b32_e64 v25, v17, v15, s[8:9]
	v_cndmask_b32_e64 v24, v14, v16, s[8:9]
	v_cmp_ge_i32_e64 s[12:13], v25, v22
	s_waitcnt lgkmcnt(0)
	v_cmp_lt_i64_e64 s[14:15], v[12:13], v[10:11]
	v_cmp_lt_i32_e64 s[10:11], v24, v23
	s_or_b64 s[12:13], s[12:13], s[14:15]
	s_and_b64 s[10:11], s[10:11], s[12:13]
	s_xor_b64 s[12:13], s[10:11], -1
                                        ; implicit-def: $vgpr14_vgpr15
	s_and_saveexec_b64 s[14:15], s[12:13]
	s_xor_b64 s[12:13], exec, s[14:15]
	s_cbranch_execz .LBB1_40
; %bb.39:
	v_lshl_add_u32 v14, v25, 3, v19
	ds_read_b64 v[14:15], v14 offset:8
.LBB1_40:
	s_or_saveexec_b64 s[12:13], s[12:13]
	v_pk_mov_b32 v[16:17], v[12:13], v[12:13] op_sel:[0,1]
	s_xor_b64 exec, exec, s[12:13]
	s_cbranch_execz .LBB1_42
; %bb.41:
	s_waitcnt lgkmcnt(0)
	v_lshl_add_u32 v14, v24, 3, v19
	ds_read_b64 v[16:17], v14 offset:8
	v_pk_mov_b32 v[14:15], v[10:11], v[10:11] op_sel:[0,1]
.LBB1_42:
	s_or_b64 exec, exec, s[12:13]
	v_cndmask_b32_e64 v11, v11, v13, s[10:11]
	v_add_u32_e32 v13, 1, v25
	v_cndmask_b32_e64 v10, v10, v12, s[10:11]
	v_add_u32_e32 v12, 1, v24
	v_cndmask_b32_e64 v13, v13, v25, s[10:11]
	v_cndmask_b32_e64 v12, v24, v12, s[10:11]
	;; [unrolled: 1-line block ×4, first 2 shown]
	v_cmp_ge_i32_e64 s[8:9], v13, v22
	s_waitcnt lgkmcnt(0)
	v_cmp_lt_i64_e64 s[10:11], v[16:17], v[14:15]
	v_cndmask_b32_e64 v1, v1, v3, s[6:7]
	v_cndmask_b32_e64 v0, v0, v2, s[6:7]
	v_cmp_lt_i32_e64 s[6:7], v12, v23
	s_or_b64 s[8:9], s[8:9], s[10:11]
	s_and_b64 s[6:7], s[6:7], s[8:9]
	v_cndmask_b32_e64 v3, v15, v17, s[6:7]
	v_cndmask_b32_e64 v2, v14, v16, s[6:7]
	; wave barrier
	ds_write2_b64 v21, v[0:1], v[4:5] offset1:1
	ds_write2_b64 v21, v[10:11], v[2:3] offset0:2 offset1:3
	v_min_i32_e32 v4, 0, v18
	v_add_u32_e32 v1, 16, v4
	v_min_i32_e32 v0, v18, v20
	v_min_i32_e32 v20, v18, v1
	v_add_u32_e32 v1, 16, v20
	v_min_i32_e32 v18, v18, v1
	v_sub_u32_e32 v3, v18, v20
	v_sub_u32_e32 v2, v20, v4
	;; [unrolled: 1-line block ×3, first 2 shown]
	v_cmp_ge_i32_e64 s[6:7], v0, v3
	v_cndmask_b32_e64 v5, 0, v5, s[6:7]
	v_min_i32_e32 v2, v0, v2
	v_lshl_add_u32 v1, v4, 3, v19
	v_cmp_lt_i32_e64 s[6:7], v5, v2
	; wave barrier
	s_and_saveexec_b64 s[8:9], s[6:7]
	s_cbranch_execz .LBB1_46
; %bb.43:
	v_lshlrev_b32_e32 v3, 3, v20
	v_lshlrev_b32_e32 v6, 3, v0
	v_add3_u32 v3, v19, v3, v6
	s_mov_b64 s[10:11], 0
.LBB1_44:                               ; =>This Inner Loop Header: Depth=1
	v_sub_u32_e32 v6, v2, v5
	v_lshrrev_b32_e32 v7, 31, v6
	v_add_u32_e32 v6, v6, v7
	v_ashrrev_i32_e32 v6, 1, v6
	v_add_u32_e32 v12, v6, v5
	v_not_b32_e32 v7, v12
	v_lshl_add_u32 v6, v12, 3, v1
	v_lshl_add_u32 v10, v7, 3, v3
	ds_read_b64 v[6:7], v6
	ds_read_b64 v[10:11], v10
	v_add_u32_e32 v13, 1, v12
	s_waitcnt lgkmcnt(0)
	v_cmp_lt_i64_e64 s[6:7], v[10:11], v[6:7]
	v_cndmask_b32_e64 v2, v2, v12, s[6:7]
	v_cndmask_b32_e64 v5, v13, v5, s[6:7]
	v_cmp_ge_i32_e64 s[6:7], v5, v2
	s_or_b64 s[10:11], s[6:7], s[10:11]
	s_andn2_b64 exec, exec, s[10:11]
	s_cbranch_execnz .LBB1_44
; %bb.45:
	s_or_b64 exec, exec, s[10:11]
.LBB1_46:
	s_or_b64 exec, exec, s[8:9]
	v_add_u32_e32 v0, v20, v0
	v_sub_u32_e32 v10, v0, v5
	v_lshl_add_u32 v6, v5, 3, v1
	v_lshl_add_u32 v12, v10, 3, v19
	ds_read_b64 v[0:1], v6
	ds_read_b64 v[2:3], v12
	v_add_u32_e32 v11, v5, v4
	v_cmp_le_i32_e64 s[8:9], v20, v11
	v_cmp_gt_i32_e64 s[6:7], v18, v10
                                        ; implicit-def: $vgpr4_vgpr5
	s_waitcnt lgkmcnt(0)
	v_cmp_lt_i64_e64 s[10:11], v[2:3], v[0:1]
	s_or_b64 s[8:9], s[8:9], s[10:11]
	s_and_b64 s[6:7], s[6:7], s[8:9]
	s_xor_b64 s[8:9], s[6:7], -1
	s_and_saveexec_b64 s[10:11], s[8:9]
	s_xor_b64 s[8:9], exec, s[10:11]
	s_cbranch_execz .LBB1_48
; %bb.47:
	ds_read_b64 v[4:5], v6 offset:8
                                        ; implicit-def: $vgpr12
.LBB1_48:
	s_or_saveexec_b64 s[8:9], s[8:9]
	v_pk_mov_b32 v[6:7], v[2:3], v[2:3] op_sel:[0,1]
	s_xor_b64 exec, exec, s[8:9]
	s_cbranch_execz .LBB1_50
; %bb.49:
	ds_read_b64 v[6:7], v12 offset:8
	s_waitcnt lgkmcnt(1)
	v_pk_mov_b32 v[4:5], v[0:1], v[0:1] op_sel:[0,1]
.LBB1_50:
	s_or_b64 exec, exec, s[8:9]
	v_add_u32_e32 v13, 1, v11
	v_add_u32_e32 v12, 1, v10
	v_cndmask_b32_e64 v15, v13, v11, s[6:7]
	v_cndmask_b32_e64 v14, v10, v12, s[6:7]
	v_cmp_ge_i32_e64 s[10:11], v15, v20
	s_waitcnt lgkmcnt(0)
	v_cmp_lt_i64_e64 s[12:13], v[6:7], v[4:5]
	v_cmp_lt_i32_e64 s[8:9], v14, v18
	s_or_b64 s[10:11], s[10:11], s[12:13]
	s_and_b64 s[8:9], s[8:9], s[10:11]
	s_xor_b64 s[10:11], s[8:9], -1
                                        ; implicit-def: $vgpr10_vgpr11
	s_and_saveexec_b64 s[12:13], s[10:11]
	s_xor_b64 s[10:11], exec, s[12:13]
	s_cbranch_execz .LBB1_52
; %bb.51:
	v_lshl_add_u32 v10, v15, 3, v19
	ds_read_b64 v[10:11], v10 offset:8
.LBB1_52:
	s_or_saveexec_b64 s[10:11], s[10:11]
	v_pk_mov_b32 v[12:13], v[6:7], v[6:7] op_sel:[0,1]
	s_xor_b64 exec, exec, s[10:11]
	s_cbranch_execz .LBB1_54
; %bb.53:
	s_waitcnt lgkmcnt(0)
	v_lshl_add_u32 v10, v14, 3, v19
	ds_read_b64 v[12:13], v10 offset:8
	v_pk_mov_b32 v[10:11], v[4:5], v[4:5] op_sel:[0,1]
.LBB1_54:
	s_or_b64 exec, exec, s[10:11]
	v_add_u32_e32 v17, 1, v15
	v_add_u32_e32 v16, 1, v14
	v_cndmask_b32_e64 v23, v17, v15, s[8:9]
	v_cndmask_b32_e64 v21, v14, v16, s[8:9]
	v_cmp_ge_i32_e64 s[12:13], v23, v20
	s_waitcnt lgkmcnt(0)
	v_cmp_lt_i64_e64 s[14:15], v[12:13], v[10:11]
	v_cmp_lt_i32_e64 s[10:11], v21, v18
	s_or_b64 s[12:13], s[12:13], s[14:15]
	s_and_b64 s[10:11], s[10:11], s[12:13]
	s_xor_b64 s[12:13], s[10:11], -1
                                        ; implicit-def: $vgpr14_vgpr15
                                        ; implicit-def: $vgpr22
	s_and_saveexec_b64 s[14:15], s[12:13]
	s_xor_b64 s[12:13], exec, s[14:15]
	s_cbranch_execnz .LBB1_61
; %bb.55:
	s_or_saveexec_b64 s[12:13], s[12:13]
	v_pk_mov_b32 v[16:17], v[12:13], v[12:13] op_sel:[0,1]
	s_xor_b64 exec, exec, s[12:13]
	s_cbranch_execnz .LBB1_62
.LBB1_56:
	s_or_b64 exec, exec, s[12:13]
	s_and_saveexec_b64 s[12:13], vcc
	s_cbranch_execnz .LBB1_63
.LBB1_57:
	s_or_b64 exec, exec, s[12:13]
	s_and_saveexec_b64 s[6:7], s[0:1]
	s_cbranch_execnz .LBB1_64
.LBB1_58:
	s_or_b64 exec, exec, s[6:7]
	s_and_saveexec_b64 s[0:1], s[2:3]
	s_cbranch_execnz .LBB1_65
.LBB1_59:
	s_or_b64 exec, exec, s[0:1]
	s_and_saveexec_b64 s[0:1], s[4:5]
	s_cbranch_execnz .LBB1_66
.LBB1_60:
	s_endpgm
.LBB1_61:
	v_lshl_add_u32 v14, v23, 3, v19
	ds_read_b64 v[14:15], v14 offset:8
	v_add_u32_e32 v22, 1, v23
                                        ; implicit-def: $vgpr23
                                        ; implicit-def: $vgpr19
	s_or_saveexec_b64 s[12:13], s[12:13]
	v_pk_mov_b32 v[16:17], v[12:13], v[12:13] op_sel:[0,1]
	s_xor_b64 exec, exec, s[12:13]
	s_cbranch_execz .LBB1_56
.LBB1_62:
	s_waitcnt lgkmcnt(0)
	v_lshl_add_u32 v14, v21, 3, v19
	ds_read_b64 v[16:17], v14 offset:8
	v_add_u32_e32 v21, 1, v21
	v_mov_b32_e32 v22, v23
	v_pk_mov_b32 v[14:15], v[10:11], v[10:11] op_sel:[0,1]
	s_or_b64 exec, exec, s[12:13]
	s_and_saveexec_b64 s[12:13], vcc
	s_cbranch_execz .LBB1_57
.LBB1_63:
	v_cndmask_b32_e64 v1, v1, v3, s[6:7]
	v_cndmask_b32_e64 v0, v0, v2, s[6:7]
	global_store_dwordx2 v[8:9], v[0:1], off
	s_or_b64 exec, exec, s[12:13]
	s_and_saveexec_b64 s[6:7], s[0:1]
	s_cbranch_execz .LBB1_58
.LBB1_64:
	v_cndmask_b32_e64 v1, v5, v7, s[8:9]
	v_cndmask_b32_e64 v0, v4, v6, s[8:9]
	global_store_dwordx2 v[8:9], v[0:1], off offset:8
	s_or_b64 exec, exec, s[6:7]
	s_and_saveexec_b64 s[0:1], s[2:3]
	s_cbranch_execz .LBB1_59
.LBB1_65:
	v_cndmask_b32_e64 v1, v11, v13, s[10:11]
	v_cndmask_b32_e64 v0, v10, v12, s[10:11]
	global_store_dwordx2 v[8:9], v[0:1], off offset:16
	s_or_b64 exec, exec, s[0:1]
	s_and_saveexec_b64 s[0:1], s[4:5]
	s_cbranch_execz .LBB1_60
.LBB1_66:
	v_cmp_ge_i32_e64 s[0:1], v22, v20
	s_waitcnt lgkmcnt(0)
	v_cmp_lt_i64_e64 s[2:3], v[16:17], v[14:15]
	v_cmp_lt_i32_e32 vcc, v21, v18
	s_or_b64 s[0:1], s[0:1], s[2:3]
	s_and_b64 vcc, vcc, s[0:1]
	v_cndmask_b32_e32 v1, v15, v17, vcc
	v_cndmask_b32_e32 v0, v14, v16, vcc
	global_store_dwordx2 v[8:9], v[0:1], off offset:24
	s_endpgm
	.section	.rodata,"a",@progbits
	.p2align	6, 0x0
	.amdhsa_kernel _Z19sort_keys_segmentedILj256ELj8ELj4ELb1ExN10test_utils4lessEEvPT3_PKjT4_
		.amdhsa_group_segment_fixed_size 8448
		.amdhsa_private_segment_fixed_size 0
		.amdhsa_kernarg_size 20
		.amdhsa_user_sgpr_count 6
		.amdhsa_user_sgpr_private_segment_buffer 1
		.amdhsa_user_sgpr_dispatch_ptr 0
		.amdhsa_user_sgpr_queue_ptr 0
		.amdhsa_user_sgpr_kernarg_segment_ptr 1
		.amdhsa_user_sgpr_dispatch_id 0
		.amdhsa_user_sgpr_flat_scratch_init 0
		.amdhsa_user_sgpr_kernarg_preload_length 0
		.amdhsa_user_sgpr_kernarg_preload_offset 0
		.amdhsa_user_sgpr_private_segment_size 0
		.amdhsa_uses_dynamic_stack 0
		.amdhsa_system_sgpr_private_segment_wavefront_offset 0
		.amdhsa_system_sgpr_workgroup_id_x 1
		.amdhsa_system_sgpr_workgroup_id_y 0
		.amdhsa_system_sgpr_workgroup_id_z 0
		.amdhsa_system_sgpr_workgroup_info 0
		.amdhsa_system_vgpr_workitem_id 0
		.amdhsa_next_free_vgpr 27
		.amdhsa_next_free_sgpr 16
		.amdhsa_accum_offset 28
		.amdhsa_reserve_vcc 1
		.amdhsa_reserve_flat_scratch 0
		.amdhsa_float_round_mode_32 0
		.amdhsa_float_round_mode_16_64 0
		.amdhsa_float_denorm_mode_32 3
		.amdhsa_float_denorm_mode_16_64 3
		.amdhsa_dx10_clamp 1
		.amdhsa_ieee_mode 1
		.amdhsa_fp16_overflow 0
		.amdhsa_tg_split 0
		.amdhsa_exception_fp_ieee_invalid_op 0
		.amdhsa_exception_fp_denorm_src 0
		.amdhsa_exception_fp_ieee_div_zero 0
		.amdhsa_exception_fp_ieee_overflow 0
		.amdhsa_exception_fp_ieee_underflow 0
		.amdhsa_exception_fp_ieee_inexact 0
		.amdhsa_exception_int_div_zero 0
	.end_amdhsa_kernel
	.section	.text._Z19sort_keys_segmentedILj256ELj8ELj4ELb1ExN10test_utils4lessEEvPT3_PKjT4_,"axG",@progbits,_Z19sort_keys_segmentedILj256ELj8ELj4ELb1ExN10test_utils4lessEEvPT3_PKjT4_,comdat
.Lfunc_end1:
	.size	_Z19sort_keys_segmentedILj256ELj8ELj4ELb1ExN10test_utils4lessEEvPT3_PKjT4_, .Lfunc_end1-_Z19sort_keys_segmentedILj256ELj8ELj4ELb1ExN10test_utils4lessEEvPT3_PKjT4_
                                        ; -- End function
	.section	.AMDGPU.csdata,"",@progbits
; Kernel info:
; codeLenInByte = 3252
; NumSgprs: 20
; NumVgprs: 27
; NumAgprs: 0
; TotalNumVgprs: 27
; ScratchSize: 0
; MemoryBound: 1
; FloatMode: 240
; IeeeMode: 1
; LDSByteSize: 8448 bytes/workgroup (compile time only)
; SGPRBlocks: 2
; VGPRBlocks: 3
; NumSGPRsForWavesPerEU: 20
; NumVGPRsForWavesPerEU: 27
; AccumOffset: 28
; Occupancy: 7
; WaveLimiterHint : 0
; COMPUTE_PGM_RSRC2:SCRATCH_EN: 0
; COMPUTE_PGM_RSRC2:USER_SGPR: 6
; COMPUTE_PGM_RSRC2:TRAP_HANDLER: 0
; COMPUTE_PGM_RSRC2:TGID_X_EN: 1
; COMPUTE_PGM_RSRC2:TGID_Y_EN: 0
; COMPUTE_PGM_RSRC2:TGID_Z_EN: 0
; COMPUTE_PGM_RSRC2:TIDIG_COMP_CNT: 0
; COMPUTE_PGM_RSRC3_GFX90A:ACCUM_OFFSET: 6
; COMPUTE_PGM_RSRC3_GFX90A:TG_SPLIT: 0
	.section	.text._Z19sort_keys_segmentedILj256ELj32ELj8ELb0EN10test_utils16custom_test_typeIfEENS0_4lessEEvPT3_PKjT4_,"axG",@progbits,_Z19sort_keys_segmentedILj256ELj32ELj8ELb0EN10test_utils16custom_test_typeIfEENS0_4lessEEvPT3_PKjT4_,comdat
	.protected	_Z19sort_keys_segmentedILj256ELj32ELj8ELb0EN10test_utils16custom_test_typeIfEENS0_4lessEEvPT3_PKjT4_ ; -- Begin function _Z19sort_keys_segmentedILj256ELj32ELj8ELb0EN10test_utils16custom_test_typeIfEENS0_4lessEEvPT3_PKjT4_
	.globl	_Z19sort_keys_segmentedILj256ELj32ELj8ELb0EN10test_utils16custom_test_typeIfEENS0_4lessEEvPT3_PKjT4_
	.p2align	8
	.type	_Z19sort_keys_segmentedILj256ELj32ELj8ELb0EN10test_utils16custom_test_typeIfEENS0_4lessEEvPT3_PKjT4_,@function
_Z19sort_keys_segmentedILj256ELj32ELj8ELb0EN10test_utils16custom_test_typeIfEENS0_4lessEEvPT3_PKjT4_: ; @_Z19sort_keys_segmentedILj256ELj32ELj8ELb0EN10test_utils16custom_test_typeIfEENS0_4lessEEvPT3_PKjT4_
; %bb.0:
	s_load_dwordx4 s[0:3], s[4:5], 0x0
	v_lshrrev_b32_e32 v22, 5, v0
	v_lshl_or_b32 v2, s6, 3, v22
	v_mov_b32_e32 v3, 0
	v_lshlrev_b64 v[0:1], 2, v[2:3]
	s_waitcnt lgkmcnt(0)
	v_mov_b32_e32 v4, s3
	v_add_co_u32_e32 v0, vcc, s2, v0
	v_addc_co_u32_e32 v1, vcc, v4, v1, vcc
	global_load_dword v34, v[0:1], off
	v_mbcnt_lo_u32_b32 v0, -1, 0
	v_mbcnt_hi_u32_b32 v0, -1, v0
	v_lshlrev_b32_e32 v2, 8, v2
	v_lshlrev_b32_e32 v36, 3, v0
	v_lshlrev_b64 v[0:1], 3, v[2:3]
	v_and_b32_e32 v35, 0xf8, v36
	v_mov_b32_e32 v2, s1
	v_add_co_u32_e32 v0, vcc, s0, v0
	v_lshlrev_b32_e32 v23, 3, v35
	v_addc_co_u32_e32 v1, vcc, v2, v1, vcc
	v_add_co_u32_e32 v0, vcc, v0, v23
	v_addc_co_u32_e32 v1, vcc, 0, v1, vcc
	s_mov_b32 s2, 0
	v_mov_b32_e32 v7, v3
	s_waitcnt vmcnt(0)
	v_cmp_lt_u32_e32 vcc, v35, v34
	s_and_saveexec_b64 s[0:1], vcc
	s_cbranch_execz .LBB2_2
; %bb.1:
	global_load_dwordx2 v[6:7], v[0:1], off
	s_waitcnt vmcnt(0)
	v_mov_b32_e32 v3, v6
.LBB2_2:
	s_or_b64 exec, exec, s[0:1]
	v_or_b32_e32 v4, 1, v35
	s_mov_b32 s3, s2
	v_cmp_lt_u32_e64 s[0:1], v4, v34
	v_pk_mov_b32 v[20:21], s[2:3], s[2:3] op_sel:[0,1]
	s_and_saveexec_b64 s[2:3], s[0:1]
	s_cbranch_execz .LBB2_4
; %bb.3:
	global_load_dwordx2 v[20:21], v[0:1], off offset:8
.LBB2_4:
	s_or_b64 exec, exec, s[2:3]
	v_or_b32_e32 v2, 2, v35
	v_cmp_lt_u32_e64 s[2:3], v2, v34
	v_mov_b32_e32 v8, 0
	v_mov_b32_e32 v12, 0
	v_mov_b32_e32 v13, 0
	s_and_saveexec_b64 s[4:5], s[2:3]
	s_cbranch_execz .LBB2_6
; %bb.5:
	global_load_dwordx2 v[12:13], v[0:1], off offset:16
.LBB2_6:
	s_or_b64 exec, exec, s[4:5]
	v_or_b32_e32 v29, 3, v35
	v_cmp_lt_u32_e64 s[4:5], v29, v34
	v_mov_b32_e32 v9, 0
	s_and_saveexec_b64 s[6:7], s[4:5]
	s_cbranch_execz .LBB2_8
; %bb.7:
	global_load_dwordx2 v[8:9], v[0:1], off offset:24
.LBB2_8:
	s_or_b64 exec, exec, s[6:7]
	v_or_b32_e32 v28, 4, v35
	v_cmp_lt_u32_e64 s[6:7], v28, v34
	v_mov_b32_e32 v18, 0
	v_mov_b32_e32 v10, 0
	v_mov_b32_e32 v11, 0
	s_and_saveexec_b64 s[8:9], s[6:7]
	s_cbranch_execz .LBB2_10
; %bb.9:
	global_load_dwordx2 v[10:11], v[0:1], off offset:32
.LBB2_10:
	s_or_b64 exec, exec, s[8:9]
	v_or_b32_e32 v27, 5, v35
	v_cmp_lt_u32_e64 s[8:9], v27, v34
	v_mov_b32_e32 v19, 0
	;; [unrolled: 20-line block ×3, first 2 shown]
	s_and_saveexec_b64 s[14:15], s[12:13]
	s_cbranch_execz .LBB2_16
; %bb.15:
	global_load_dwordx2 v[14:15], v[0:1], off offset:56
.LBB2_16:
	s_or_b64 exec, exec, s[14:15]
	s_getpc_b64 s[14:15]
	s_add_u32 s14, s14, _ZN9sort_lastIN10test_utils4lessENS0_16custom_test_typeIfEEE5valueE@rel32@lo+4
	s_addc_u32 s15, s15, _ZN9sort_lastIN10test_utils4lessENS0_16custom_test_typeIfEEE5valueE@rel32@hi+12
	s_load_dwordx2 s[16:17], s[14:15], 0x0
	v_cmp_lt_i32_e64 s[14:15], v4, v34
	s_waitcnt lgkmcnt(0)
	v_pk_mov_b32 v[4:5], s[16:17], s[16:17] op_sel:[0,1]
	v_mov_b32_e32 v25, s16
	v_mov_b32_e32 v26, s17
	s_and_saveexec_b64 s[18:19], s[14:15]
	s_cbranch_execz .LBB2_22
; %bb.17:
	s_waitcnt vmcnt(0)
	v_cmp_nlt_f32_e64 s[14:15], s16, v20
	s_mov_b64 s[22:23], -1
	s_and_saveexec_b64 s[20:21], s[14:15]
	s_cbranch_execz .LBB2_21
; %bb.18:
	v_cmp_eq_f32_e64 s[14:15], s16, v20
	s_mov_b64 s[22:23], 0
	s_and_saveexec_b64 s[24:25], s[14:15]
; %bb.19:
	v_cmp_lt_f32_e64 s[14:15], s17, v21
	s_and_b64 s[22:23], s[14:15], exec
; %bb.20:
	s_or_b64 exec, exec, s[24:25]
	s_orn2_b64 s[22:23], s[22:23], exec
.LBB2_21:
	s_or_b64 exec, exec, s[20:21]
	v_mov_b32_e32 v4, s16
	v_cndmask_b32_e64 v25, v4, v20, s[22:23]
	v_mov_b32_e32 v4, s17
	v_cndmask_b32_e64 v26, v4, v21, s[22:23]
	v_pk_mov_b32 v[4:5], v[20:21], v[20:21] op_sel:[0,1]
.LBB2_22:
	s_or_b64 exec, exec, s[18:19]
	v_cmp_lt_i32_e64 s[14:15], v2, v34
	s_waitcnt vmcnt(0)
	v_mov_b32_e32 v20, v25
	v_mov_b32_e32 v2, v26
	s_and_saveexec_b64 s[16:17], s[14:15]
	s_cbranch_execz .LBB2_28
; %bb.23:
	v_cmp_nlt_f32_e64 s[14:15], v25, v12
	s_mov_b64 s[20:21], -1
	s_and_saveexec_b64 s[18:19], s[14:15]
	s_cbranch_execz .LBB2_27
; %bb.24:
	v_cmp_eq_f32_e64 s[14:15], v25, v12
	s_mov_b64 s[20:21], 0
	s_and_saveexec_b64 s[22:23], s[14:15]
; %bb.25:
	v_cmp_lt_f32_e64 s[14:15], v26, v13
	s_and_b64 s[20:21], s[14:15], exec
; %bb.26:
	s_or_b64 exec, exec, s[22:23]
	s_orn2_b64 s[20:21], s[20:21], exec
.LBB2_27:
	s_or_b64 exec, exec, s[18:19]
	v_cndmask_b32_e64 v25, v25, v12, s[20:21]
	v_cndmask_b32_e64 v26, v26, v13, s[20:21]
	v_mov_b32_e32 v20, v12
	v_mov_b32_e32 v2, v13
.LBB2_28:
	s_or_b64 exec, exec, s[16:17]
	v_cmp_lt_i32_e64 s[14:15], v29, v34
	v_mov_b32_e32 v13, v25
	v_mov_b32_e32 v12, v26
	s_and_saveexec_b64 s[16:17], s[14:15]
	s_cbranch_execz .LBB2_34
; %bb.29:
	v_cmp_nlt_f32_e64 s[14:15], v25, v8
	s_mov_b64 s[20:21], -1
	s_and_saveexec_b64 s[18:19], s[14:15]
	s_cbranch_execz .LBB2_33
; %bb.30:
	v_cmp_eq_f32_e64 s[14:15], v25, v8
	s_mov_b64 s[20:21], 0
	s_and_saveexec_b64 s[22:23], s[14:15]
; %bb.31:
	v_cmp_lt_f32_e64 s[14:15], v26, v9
	s_and_b64 s[20:21], s[14:15], exec
; %bb.32:
	s_or_b64 exec, exec, s[22:23]
	s_orn2_b64 s[20:21], s[20:21], exec
.LBB2_33:
	s_or_b64 exec, exec, s[18:19]
	v_cndmask_b32_e64 v25, v25, v8, s[20:21]
	v_cndmask_b32_e64 v26, v26, v9, s[20:21]
	v_mov_b32_e32 v13, v8
	v_mov_b32_e32 v12, v9
.LBB2_34:
	s_or_b64 exec, exec, s[16:17]
	v_cmp_lt_i32_e64 s[14:15], v28, v34
	;; [unrolled: 28-line block ×5, first 2 shown]
	v_cndmask_b32_e64 v18, v26, v15, s[14:15]
	v_cndmask_b32_e64 v19, v25, v14, s[14:15]
	v_cmp_ge_i32_e64 s[14:15], v35, v34
                                        ; implicit-def: $vgpr14_vgpr15
	s_and_saveexec_b64 s[16:17], s[14:15]
	s_xor_b64 s[14:15], exec, s[16:17]
; %bb.53:
	v_mov_b32_e32 v14, v7
	v_mov_b32_e32 v15, v4
                                        ; implicit-def: $vgpr7
; %bb.54:
	s_andn2_saveexec_b64 s[20:21], s[14:15]
	s_cbranch_execz .LBB2_150
; %bb.55:
	v_cmp_lt_f32_e64 s[18:19], v13, v20
	v_cmp_nlt_f32_e64 s[14:15], v13, v20
	s_and_saveexec_b64 s[22:23], s[14:15]
; %bb.56:
	v_cmp_eq_f32_e64 s[14:15], v13, v20
	v_cmp_lt_f32_e64 s[16:17], v12, v2
	s_and_b64 s[14:15], s[14:15], s[16:17]
	s_andn2_b64 s[16:17], s[18:19], exec
	s_and_b64 s[14:15], s[14:15], exec
	s_or_b64 s[18:19], s[16:17], s[14:15]
; %bb.57:
	s_or_b64 exec, exec, s[22:23]
	v_mov_b32_e32 v14, v12
	v_mov_b32_e32 v16, v13
	s_and_saveexec_b64 s[14:15], s[18:19]
; %bb.58:
	v_mov_b32_e32 v14, v2
	v_mov_b32_e32 v16, v20
	v_mov_b32_e32 v2, v12
	v_mov_b32_e32 v20, v13
; %bb.59:
	s_or_b64 exec, exec, s[14:15]
	v_cmp_lt_f32_e64 s[18:19], v9, v21
	v_cmp_nlt_f32_e64 s[14:15], v9, v21
	s_and_saveexec_b64 s[22:23], s[14:15]
; %bb.60:
	v_cmp_eq_f32_e64 s[14:15], v9, v21
	v_cmp_lt_f32_e64 s[16:17], v10, v8
	s_and_b64 s[14:15], s[14:15], s[16:17]
	s_andn2_b64 s[16:17], s[18:19], exec
	s_and_b64 s[14:15], s[14:15], exec
	s_or_b64 s[18:19], s[16:17], s[14:15]
; %bb.61:
	s_or_b64 exec, exec, s[22:23]
	v_mov_b32_e32 v24, v10
	v_mov_b32_e32 v25, v9
	s_and_saveexec_b64 s[14:15], s[18:19]
; %bb.62:
	v_mov_b32_e32 v24, v8
	v_mov_b32_e32 v25, v21
	v_mov_b32_e32 v8, v10
	v_mov_b32_e32 v21, v9
; %bb.63:
	s_or_b64 exec, exec, s[14:15]
	v_cmp_lt_f32_e64 s[18:19], v19, v11
	v_cmp_nlt_f32_e64 s[14:15], v19, v11
	s_and_saveexec_b64 s[22:23], s[14:15]
; %bb.64:
	v_cmp_eq_f32_e64 s[14:15], v19, v11
	v_cmp_lt_f32_e64 s[16:17], v18, v6
	s_and_b64 s[14:15], s[14:15], s[16:17]
	s_andn2_b64 s[16:17], s[18:19], exec
	s_and_b64 s[14:15], s[14:15], exec
	s_or_b64 s[18:19], s[16:17], s[14:15]
; %bb.65:
	s_or_b64 exec, exec, s[22:23]
	v_mov_b32_e32 v13, v18
	v_mov_b32_e32 v17, v19
	s_and_saveexec_b64 s[14:15], s[18:19]
; %bb.66:
	v_mov_b32_e32 v13, v6
	v_mov_b32_e32 v17, v11
	v_mov_b32_e32 v6, v18
	v_mov_b32_e32 v11, v19
; %bb.67:
	s_or_b64 exec, exec, s[14:15]
	v_cmp_neq_f32_e64 s[16:17], v4, v3
	v_cmp_nlt_f32_e64 s[18:19], v5, v7
	v_cmp_nlt_f32_e64 s[14:15], v4, v3
	s_or_b64 s[16:17], s[16:17], s[18:19]
	s_and_b64 s[14:15], s[14:15], s[16:17]
	v_cndmask_b32_e64 v12, v3, v4, s[14:15]
	v_cndmask_b32_e64 v10, v7, v5, s[14:15]
	v_cmp_nlt_f32_e64 s[16:17], v20, v12
	s_mov_b64 s[18:19], -1
	s_and_saveexec_b64 s[22:23], s[16:17]
	s_xor_b64 s[22:23], exec, s[22:23]
; %bb.68:
	v_cmp_eq_f32_e64 s[16:17], v20, v12
	v_cmp_lt_f32_e64 s[18:19], v2, v10
	s_and_b64 s[16:17], s[16:17], s[18:19]
	s_orn2_b64 s[18:19], s[16:17], exec
; %bb.69:
	s_or_b64 exec, exec, s[22:23]
	v_mov_b32_e32 v18, v2
	v_mov_b32_e32 v26, v20
	s_and_saveexec_b64 s[16:17], s[18:19]
; %bb.70:
	v_mov_b32_e32 v18, v10
	v_mov_b32_e32 v26, v12
	;; [unrolled: 1-line block ×4, first 2 shown]
; %bb.71:
	s_or_b64 exec, exec, s[16:17]
	v_cmp_lt_f32_e64 s[22:23], v21, v16
	v_cmp_nlt_f32_e64 s[16:17], v21, v16
	s_and_saveexec_b64 s[24:25], s[16:17]
; %bb.72:
	v_cmp_eq_f32_e64 s[16:17], v21, v16
	v_cmp_lt_f32_e64 s[18:19], v8, v14
	s_and_b64 s[16:17], s[16:17], s[18:19]
	s_andn2_b64 s[18:19], s[22:23], exec
	s_and_b64 s[16:17], s[16:17], exec
	s_or_b64 s[22:23], s[18:19], s[16:17]
; %bb.73:
	s_or_b64 exec, exec, s[24:25]
	v_mov_b32_e32 v19, v8
	v_mov_b32_e32 v27, v21
	s_and_saveexec_b64 s[16:17], s[22:23]
; %bb.74:
	v_mov_b32_e32 v19, v14
	v_mov_b32_e32 v27, v16
	;; [unrolled: 1-line block ×4, first 2 shown]
; %bb.75:
	s_or_b64 exec, exec, s[16:17]
	v_cmp_lt_f32_e64 s[22:23], v11, v25
	v_cmp_nlt_f32_e64 s[16:17], v11, v25
	s_and_saveexec_b64 s[24:25], s[16:17]
; %bb.76:
	v_cmp_eq_f32_e64 s[16:17], v11, v25
	v_cmp_lt_f32_e64 s[18:19], v6, v24
	s_and_b64 s[16:17], s[16:17], s[18:19]
	s_andn2_b64 s[18:19], s[22:23], exec
	s_and_b64 s[16:17], s[16:17], exec
	s_or_b64 s[22:23], s[18:19], s[16:17]
; %bb.77:
	s_or_b64 exec, exec, s[24:25]
	v_mov_b32_e32 v20, v6
	v_mov_b32_e32 v21, v11
	s_and_saveexec_b64 s[16:17], s[22:23]
; %bb.78:
	v_mov_b32_e32 v20, v24
	v_mov_b32_e32 v21, v25
	;; [unrolled: 1-line block ×4, first 2 shown]
; %bb.79:
	s_or_b64 exec, exec, s[16:17]
	v_cndmask_b32_e64 v6, v5, v7, s[14:15]
	v_cndmask_b32_e64 v3, v4, v3, s[14:15]
	v_cmp_eq_f32_e64 s[16:17], v12, v3
	v_cmp_lt_f32_e64 s[18:19], v10, v6
	v_cmp_lt_f32_e64 s[14:15], v12, v3
	s_and_b64 s[16:17], s[16:17], s[18:19]
	s_or_b64 s[16:17], s[14:15], s[16:17]
	v_mov_b32_e32 v2, v6
	v_mov_b32_e32 v5, v3
	s_and_saveexec_b64 s[14:15], s[16:17]
; %bb.80:
	v_mov_b32_e32 v2, v10
	v_mov_b32_e32 v5, v12
	v_mov_b32_e32 v10, v6
	v_mov_b32_e32 v12, v3
; %bb.81:
	s_or_b64 exec, exec, s[14:15]
	v_cmp_lt_f32_e64 s[18:19], v16, v26
	v_cmp_nlt_f32_e64 s[14:15], v16, v26
	s_and_saveexec_b64 s[22:23], s[14:15]
; %bb.82:
	v_cmp_eq_f32_e64 s[14:15], v16, v26
	v_cmp_lt_f32_e64 s[16:17], v14, v18
	s_and_b64 s[14:15], s[14:15], s[16:17]
	s_andn2_b64 s[16:17], s[18:19], exec
	s_and_b64 s[14:15], s[14:15], exec
	s_or_b64 s[18:19], s[16:17], s[14:15]
; %bb.83:
	s_or_b64 exec, exec, s[22:23]
	v_mov_b32_e32 v8, v14
	v_mov_b32_e32 v15, v16
	s_and_saveexec_b64 s[14:15], s[18:19]
; %bb.84:
	v_mov_b32_e32 v8, v18
	v_mov_b32_e32 v15, v26
	v_mov_b32_e32 v18, v14
	v_mov_b32_e32 v26, v16
; %bb.85:
	s_or_b64 exec, exec, s[14:15]
	v_cmp_lt_f32_e64 s[18:19], v25, v27
	v_cmp_nlt_f32_e64 s[14:15], v25, v27
	s_and_saveexec_b64 s[22:23], s[14:15]
; %bb.86:
	v_cmp_eq_f32_e64 s[14:15], v25, v27
	v_cmp_lt_f32_e64 s[16:17], v24, v19
	s_and_b64 s[14:15], s[14:15], s[16:17]
	s_andn2_b64 s[16:17], s[18:19], exec
	s_and_b64 s[14:15], s[14:15], exec
	s_or_b64 s[18:19], s[16:17], s[14:15]
; %bb.87:
	s_or_b64 exec, exec, s[22:23]
	;; [unrolled: 22-line block ×16, first 2 shown]
	v_mov_b32_e32 v6, v5
	v_mov_b32_e32 v9, v8
	s_and_saveexec_b64 s[14:15], s[18:19]
; %bb.144:
	v_mov_b32_e32 v6, v11
	v_mov_b32_e32 v9, v17
	;; [unrolled: 1-line block ×4, first 2 shown]
; %bb.145:
	s_or_b64 exec, exec, s[14:15]
	v_cmp_neq_f32_e64 s[16:17], v16, v25
	v_cmp_nlt_f32_e64 s[18:19], v15, v13
	v_cmp_nlt_f32_e64 s[14:15], v16, v25
	s_or_b64 s[16:17], s[16:17], s[18:19]
	s_and_b64 s[14:15], s[14:15], s[16:17]
	v_cmp_neq_f32_e64 s[16:17], v24, v12
	v_cmp_nlt_f32_e64 s[18:19], v21, v10
	v_cndmask_b32_e64 v18, v13, v15, s[14:15]
	v_cndmask_b32_e64 v7, v16, v25, s[14:15]
	;; [unrolled: 1-line block ×4, first 2 shown]
	v_cmp_nlt_f32_e64 s[14:15], v24, v12
	s_or_b64 s[16:17], s[16:17], s[18:19]
	s_and_b64 s[14:15], s[14:15], s[16:17]
	v_cmp_neq_f32_e64 s[16:17], v17, v26
	v_cmp_nlt_f32_e64 s[18:19], v11, v4
	v_cndmask_b32_e64 v2, v10, v21, s[14:15]
	v_cndmask_b32_e64 v15, v24, v12, s[14:15]
	v_cndmask_b32_e64 v5, v21, v10, s[14:15]
	v_cndmask_b32_e64 v20, v12, v24, s[14:15]
	v_cmp_nlt_f32_e64 s[14:15], v17, v26
	s_or_b64 s[16:17], s[16:17], s[18:19]
	s_and_b64 s[14:15], s[14:15], s[16:17]
	v_cmp_eq_f32_e64 s[16:17], v7, v9
	v_cmp_lt_f32_e64 s[18:19], v16, v6
	v_cndmask_b32_e64 v8, v4, v11, s[14:15]
	v_cndmask_b32_e64 v13, v17, v26, s[14:15]
	v_cndmask_b32_e64 v12, v11, v4, s[14:15]
	v_cndmask_b32_e64 v21, v26, v17, s[14:15]
	v_cmp_lt_f32_e64 s[14:15], v7, v9
	s_and_b64 s[16:17], s[16:17], s[18:19]
	s_or_b64 s[14:15], s[14:15], s[16:17]
                                        ; implicit-def: $vgpr10_vgpr11
	s_and_saveexec_b64 s[16:17], s[14:15]
	s_xor_b64 s[14:15], exec, s[16:17]
; %bb.146:
	v_mov_b32_e32 v24, v8
	v_mov_b32_e32 v25, v7
	;; [unrolled: 1-line block ×3, first 2 shown]
	v_pk_mov_b32 v[10:11], v[16:17], v[16:17] op_sel:[0,1]
	v_pk_mov_b32 v[8:9], v[24:25], v[24:25] op_sel:[0,1]
                                        ; implicit-def: $vgpr16
; %bb.147:
	s_andn2_saveexec_b64 s[14:15], s[14:15]
; %bb.148:
	v_pk_mov_b32 v[10:11], v[6:7], v[6:7] op_sel:[0,1]
	v_pk_mov_b32 v[6:7], v[16:17], v[16:17] op_sel:[0,1]
; %bb.149:
	s_or_b64 exec, exec, s[14:15]
.LBB2_150:
	s_or_b64 exec, exec, s[20:21]
	s_movk_i32 s14, 0x808
	v_mad_u32_u24 v38, v22, s14, v23
	; wave barrier
	ds_write2_b32 v38, v14, v15 offset0:1 offset1:2
	ds_write2_b32 v38, v5, v20 offset0:3 offset1:4
	;; [unrolled: 1-line block ×7, first 2 shown]
	ds_write2_b32 v38, v3, v18 offset1:15
	v_and_b32_e32 v3, 0xf0, v36
	v_min_i32_e32 v6, v34, v3
	v_add_u32_e32 v3, 8, v6
	v_min_i32_e32 v39, v34, v3
	v_add_u32_e32 v3, 8, v39
	v_and_b32_e32 v2, 8, v36
	v_min_i32_e32 v40, v34, v3
	v_min_i32_e32 v2, v34, v2
	v_sub_u32_e32 v5, v40, v39
	v_lshlrev_b32_e32 v3, 3, v6
	v_sub_u32_e32 v4, v39, v6
	v_mad_u32_u24 v3, v22, s14, v3
	v_sub_u32_e32 v7, v2, v5
	v_cmp_ge_i32_e64 s[14:15], v2, v5
	v_cndmask_b32_e64 v7, 0, v7, s[14:15]
	v_min_i32_e32 v4, v2, v4
	v_mul_u32_u24_e32 v37, 0x808, v22
	v_cmp_lt_i32_e64 s[14:15], v7, v4
	; wave barrier
	s_and_saveexec_b64 s[16:17], s[14:15]
	s_cbranch_execz .LBB2_158
; %bb.151:
	v_lshlrev_b32_e32 v5, 3, v39
	v_lshlrev_b32_e32 v8, 3, v2
	v_add3_u32 v5, v37, v5, v8
	s_mov_b64 s[18:19], 0
                                        ; implicit-def: $sgpr20_sgpr21
	s_branch .LBB2_154
.LBB2_152:                              ;   in Loop: Header=BB2_154 Depth=1
	s_or_b64 exec, exec, s[26:27]
	s_andn2_b64 s[14:15], s[20:21], exec
	s_and_b64 s[20:21], s[24:25], exec
	s_or_b64 s[20:21], s[14:15], s[20:21]
.LBB2_153:                              ;   in Loop: Header=BB2_154 Depth=1
	s_or_b64 exec, exec, s[22:23]
	v_add_u32_e32 v9, 1, v8
	v_cndmask_b32_e64 v4, v4, v8, s[20:21]
	v_cndmask_b32_e64 v7, v9, v7, s[20:21]
	v_cmp_ge_i32_e64 s[14:15], v7, v4
	s_or_b64 s[18:19], s[14:15], s[18:19]
	s_andn2_b64 exec, exec, s[18:19]
	s_cbranch_execz .LBB2_157
.LBB2_154:                              ; =>This Inner Loop Header: Depth=1
	v_sub_u32_e32 v8, v4, v7
	v_lshrrev_b32_e32 v9, 31, v8
	v_add_u32_e32 v8, v8, v9
	v_ashrrev_i32_e32 v8, 1, v8
	v_add_u32_e32 v8, v8, v7
	v_lshl_add_u32 v9, v8, 3, v3
	v_not_b32_e32 v10, v8
	v_lshl_add_u32 v10, v10, 3, v5
	ds_read_b32 v11, v9
	ds_read_b32 v12, v10
	s_or_b64 s[20:21], s[20:21], exec
	s_waitcnt lgkmcnt(0)
	v_cmp_nlt_f32_e64 s[14:15], v12, v11
	s_and_saveexec_b64 s[22:23], s[14:15]
	s_cbranch_execz .LBB2_153
; %bb.155:                              ;   in Loop: Header=BB2_154 Depth=1
	v_cmp_eq_f32_e64 s[14:15], v12, v11
	s_mov_b64 s[24:25], 0
	s_and_saveexec_b64 s[26:27], s[14:15]
	s_cbranch_execz .LBB2_152
; %bb.156:                              ;   in Loop: Header=BB2_154 Depth=1
	ds_read_b32 v10, v10 offset:4
	ds_read_b32 v9, v9 offset:4
	s_waitcnt lgkmcnt(0)
	v_cmp_lt_f32_e64 s[14:15], v10, v9
	s_and_b64 s[24:25], s[14:15], exec
	s_branch .LBB2_152
.LBB2_157:
	s_or_b64 exec, exec, s[18:19]
.LBB2_158:
	s_or_b64 exec, exec, s[16:17]
	v_add_u32_e32 v2, v39, v2
	v_sub_u32_e32 v10, v2, v7
	v_lshl_add_u32 v8, v7, 3, v3
	v_lshl_add_u32 v11, v10, 3, v37
	ds_read_b64 v[2:3], v8
	ds_read_b64 v[4:5], v11
	v_cmp_le_i32_e64 s[14:15], v40, v10
                                        ; implicit-def: $sgpr18_sgpr19
	s_and_saveexec_b64 s[16:17], s[14:15]
	s_xor_b64 s[14:15], exec, s[16:17]
; %bb.159:
	s_mov_b64 s[18:19], 0
; %bb.160:
	s_or_saveexec_b64 s[20:21], s[14:15]
	v_add_u32_e32 v12, v7, v6
	s_xor_b64 exec, exec, s[20:21]
	s_cbranch_execz .LBB2_166
; %bb.161:
	v_cmp_gt_i32_e64 s[14:15], v39, v12
	s_waitcnt lgkmcnt(0)
	v_cmp_nlt_f32_e64 s[16:17], v4, v2
	s_and_b64 s[22:23], s[14:15], s[16:17]
	s_mov_b64 s[14:15], -1
	s_and_saveexec_b64 s[16:17], s[22:23]
	s_cbranch_execz .LBB2_165
; %bb.162:
	v_cmp_eq_f32_e64 s[14:15], v4, v2
	s_mov_b64 s[22:23], 0
	s_and_saveexec_b64 s[24:25], s[14:15]
; %bb.163:
	v_cmp_lt_f32_e64 s[14:15], v5, v3
	s_and_b64 s[22:23], s[14:15], exec
; %bb.164:
	s_or_b64 exec, exec, s[24:25]
	s_orn2_b64 s[14:15], s[22:23], exec
.LBB2_165:
	s_or_b64 exec, exec, s[16:17]
	s_andn2_b64 s[16:17], s[18:19], exec
	s_and_b64 s[14:15], s[14:15], exec
	s_or_b64 s[18:19], s[16:17], s[14:15]
.LBB2_166:
	s_or_b64 exec, exec, s[20:21]
	s_xor_b64 s[14:15], s[18:19], -1
                                        ; implicit-def: $vgpr6_vgpr7
	s_and_saveexec_b64 s[16:17], s[14:15]
	s_xor_b64 s[14:15], exec, s[16:17]
	s_cbranch_execz .LBB2_168
; %bb.167:
	ds_read_b64 v[6:7], v8 offset:8
                                        ; implicit-def: $vgpr11
.LBB2_168:
	s_or_saveexec_b64 s[14:15], s[14:15]
	s_waitcnt lgkmcnt(0)
	v_pk_mov_b32 v[8:9], v[4:5], v[4:5] op_sel:[0,1]
	s_xor_b64 exec, exec, s[14:15]
	s_cbranch_execz .LBB2_170
; %bb.169:
	ds_read_b64 v[8:9], v11 offset:8
	v_pk_mov_b32 v[6:7], v[2:3], v[2:3] op_sel:[0,1]
.LBB2_170:
	s_or_b64 exec, exec, s[14:15]
	v_add_u32_e32 v11, 1, v10
	v_add_u32_e32 v13, 1, v12
	v_cndmask_b32_e64 v15, v10, v11, s[18:19]
	v_cndmask_b32_e64 v14, v13, v12, s[18:19]
	v_cmp_lt_i32_e64 s[14:15], v15, v40
	s_mov_b64 s[20:21], 0
	s_and_saveexec_b64 s[22:23], s[14:15]
	s_cbranch_execz .LBB2_176
; %bb.171:
	v_cmp_lt_i32_e64 s[14:15], v14, v39
	s_waitcnt lgkmcnt(0)
	v_cmp_nlt_f32_e64 s[16:17], v8, v6
	s_and_b64 s[20:21], s[14:15], s[16:17]
	s_mov_b64 s[14:15], -1
	s_and_saveexec_b64 s[16:17], s[20:21]
	s_cbranch_execz .LBB2_175
; %bb.172:
	v_cmp_eq_f32_e64 s[14:15], v8, v6
	s_mov_b64 s[20:21], 0
	s_and_saveexec_b64 s[24:25], s[14:15]
; %bb.173:
	v_cmp_lt_f32_e64 s[14:15], v9, v7
	s_and_b64 s[20:21], s[14:15], exec
; %bb.174:
	s_or_b64 exec, exec, s[24:25]
	s_orn2_b64 s[14:15], s[20:21], exec
.LBB2_175:
	s_or_b64 exec, exec, s[16:17]
	s_and_b64 s[20:21], s[14:15], exec
.LBB2_176:
	s_or_b64 exec, exec, s[22:23]
	s_xor_b64 s[14:15], s[20:21], -1
                                        ; implicit-def: $vgpr10_vgpr11
	s_and_saveexec_b64 s[16:17], s[14:15]
	s_xor_b64 s[14:15], exec, s[16:17]
	s_cbranch_execz .LBB2_178
; %bb.177:
	v_lshl_add_u32 v10, v14, 3, v37
	ds_read_b64 v[10:11], v10 offset:8
.LBB2_178:
	s_or_saveexec_b64 s[14:15], s[14:15]
	s_waitcnt lgkmcnt(0)
	v_pk_mov_b32 v[12:13], v[8:9], v[8:9] op_sel:[0,1]
	s_xor_b64 exec, exec, s[14:15]
	s_cbranch_execz .LBB2_180
; %bb.179:
	v_lshl_add_u32 v10, v15, 3, v37
	ds_read_b64 v[12:13], v10 offset:8
	v_pk_mov_b32 v[10:11], v[6:7], v[6:7] op_sel:[0,1]
.LBB2_180:
	s_or_b64 exec, exec, s[14:15]
	v_add_u32_e32 v17, 1, v15
	v_cndmask_b32_e64 v18, v15, v17, s[20:21]
	v_add_u32_e32 v16, 1, v14
	v_cmp_ge_i32_e64 s[14:15], v18, v40
                                        ; implicit-def: $sgpr22_sgpr23
	s_and_saveexec_b64 s[16:17], s[14:15]
	s_xor_b64 s[14:15], exec, s[16:17]
; %bb.181:
	s_mov_b64 s[22:23], 0
; %bb.182:
	s_or_saveexec_b64 s[24:25], s[14:15]
	v_cndmask_b32_e64 v19, v16, v14, s[20:21]
	s_xor_b64 exec, exec, s[24:25]
	s_cbranch_execz .LBB2_188
; %bb.183:
	v_cmp_lt_i32_e64 s[14:15], v19, v39
	s_waitcnt lgkmcnt(0)
	v_cmp_nlt_f32_e64 s[16:17], v12, v10
	s_and_b64 s[26:27], s[14:15], s[16:17]
	s_mov_b64 s[14:15], -1
	s_and_saveexec_b64 s[16:17], s[26:27]
	s_cbranch_execz .LBB2_187
; %bb.184:
	v_cmp_eq_f32_e64 s[14:15], v12, v10
	s_mov_b64 s[26:27], 0
	s_and_saveexec_b64 s[28:29], s[14:15]
; %bb.185:
	v_cmp_lt_f32_e64 s[14:15], v13, v11
	s_and_b64 s[26:27], s[14:15], exec
; %bb.186:
	s_or_b64 exec, exec, s[28:29]
	s_orn2_b64 s[14:15], s[26:27], exec
.LBB2_187:
	s_or_b64 exec, exec, s[16:17]
	s_andn2_b64 s[16:17], s[22:23], exec
	s_and_b64 s[14:15], s[14:15], exec
	s_or_b64 s[22:23], s[16:17], s[14:15]
.LBB2_188:
	s_or_b64 exec, exec, s[24:25]
	s_xor_b64 s[14:15], s[22:23], -1
                                        ; implicit-def: $vgpr14_vgpr15
	s_and_saveexec_b64 s[16:17], s[14:15]
	s_xor_b64 s[14:15], exec, s[16:17]
	s_cbranch_execz .LBB2_190
; %bb.189:
	v_lshl_add_u32 v14, v19, 3, v37
	ds_read_b64 v[14:15], v14 offset:8
.LBB2_190:
	s_or_saveexec_b64 s[14:15], s[14:15]
	s_waitcnt lgkmcnt(0)
	v_pk_mov_b32 v[16:17], v[12:13], v[12:13] op_sel:[0,1]
	s_xor_b64 exec, exec, s[14:15]
	s_cbranch_execz .LBB2_192
; %bb.191:
	v_lshl_add_u32 v14, v18, 3, v37
	ds_read_b64 v[16:17], v14 offset:8
	v_pk_mov_b32 v[14:15], v[10:11], v[10:11] op_sel:[0,1]
.LBB2_192:
	s_or_b64 exec, exec, s[14:15]
	v_add_u32_e32 v20, 1, v18
	v_add_u32_e32 v21, 1, v19
	v_cndmask_b32_e64 v23, v18, v20, s[22:23]
	v_cndmask_b32_e64 v22, v21, v19, s[22:23]
	v_cmp_lt_i32_e64 s[14:15], v23, v40
	s_mov_b64 s[24:25], 0
	s_and_saveexec_b64 s[26:27], s[14:15]
	s_cbranch_execz .LBB2_198
; %bb.193:
	v_cmp_lt_i32_e64 s[14:15], v22, v39
	s_waitcnt lgkmcnt(0)
	v_cmp_nlt_f32_e64 s[16:17], v16, v14
	s_and_b64 s[24:25], s[14:15], s[16:17]
	s_mov_b64 s[14:15], -1
	s_and_saveexec_b64 s[16:17], s[24:25]
	s_cbranch_execz .LBB2_197
; %bb.194:
	v_cmp_eq_f32_e64 s[14:15], v16, v14
	s_mov_b64 s[24:25], 0
	s_and_saveexec_b64 s[28:29], s[14:15]
; %bb.195:
	v_cmp_lt_f32_e64 s[14:15], v17, v15
	s_and_b64 s[24:25], s[14:15], exec
; %bb.196:
	s_or_b64 exec, exec, s[28:29]
	s_orn2_b64 s[14:15], s[24:25], exec
.LBB2_197:
	s_or_b64 exec, exec, s[16:17]
	s_and_b64 s[24:25], s[14:15], exec
.LBB2_198:
	s_or_b64 exec, exec, s[26:27]
	s_xor_b64 s[14:15], s[24:25], -1
                                        ; implicit-def: $vgpr18_vgpr19
	s_and_saveexec_b64 s[16:17], s[14:15]
	s_xor_b64 s[14:15], exec, s[16:17]
	s_cbranch_execz .LBB2_200
; %bb.199:
	v_lshl_add_u32 v18, v22, 3, v37
	ds_read_b64 v[18:19], v18 offset:8
.LBB2_200:
	s_or_saveexec_b64 s[14:15], s[14:15]
	s_waitcnt lgkmcnt(0)
	v_pk_mov_b32 v[20:21], v[16:17], v[16:17] op_sel:[0,1]
	s_xor_b64 exec, exec, s[14:15]
	s_cbranch_execz .LBB2_202
; %bb.201:
	v_lshl_add_u32 v18, v23, 3, v37
	ds_read_b64 v[20:21], v18 offset:8
	v_pk_mov_b32 v[18:19], v[14:15], v[14:15] op_sel:[0,1]
.LBB2_202:
	s_or_b64 exec, exec, s[14:15]
	v_add_u32_e32 v25, 1, v23
	v_cndmask_b32_e64 v26, v23, v25, s[24:25]
	v_add_u32_e32 v24, 1, v22
	v_cmp_ge_i32_e64 s[14:15], v26, v40
                                        ; implicit-def: $sgpr26_sgpr27
	s_and_saveexec_b64 s[16:17], s[14:15]
	s_xor_b64 s[14:15], exec, s[16:17]
; %bb.203:
	s_mov_b64 s[26:27], 0
; %bb.204:
	s_or_saveexec_b64 s[28:29], s[14:15]
	v_cndmask_b32_e64 v27, v24, v22, s[24:25]
	s_xor_b64 exec, exec, s[28:29]
	s_cbranch_execz .LBB2_210
; %bb.205:
	v_cmp_lt_i32_e64 s[14:15], v27, v39
	s_waitcnt lgkmcnt(0)
	v_cmp_nlt_f32_e64 s[16:17], v20, v18
	s_and_b64 s[30:31], s[14:15], s[16:17]
	s_mov_b64 s[14:15], -1
	s_and_saveexec_b64 s[16:17], s[30:31]
	s_cbranch_execz .LBB2_209
; %bb.206:
	v_cmp_eq_f32_e64 s[14:15], v20, v18
	s_mov_b64 s[30:31], 0
	s_and_saveexec_b64 s[34:35], s[14:15]
; %bb.207:
	v_cmp_lt_f32_e64 s[14:15], v21, v19
	s_and_b64 s[30:31], s[14:15], exec
; %bb.208:
	s_or_b64 exec, exec, s[34:35]
	s_orn2_b64 s[14:15], s[30:31], exec
.LBB2_209:
	s_or_b64 exec, exec, s[16:17]
	s_andn2_b64 s[16:17], s[26:27], exec
	s_and_b64 s[14:15], s[14:15], exec
	s_or_b64 s[26:27], s[16:17], s[14:15]
.LBB2_210:
	s_or_b64 exec, exec, s[28:29]
	s_xor_b64 s[14:15], s[26:27], -1
                                        ; implicit-def: $vgpr22_vgpr23
	s_and_saveexec_b64 s[16:17], s[14:15]
	s_xor_b64 s[14:15], exec, s[16:17]
	s_cbranch_execz .LBB2_212
; %bb.211:
	v_lshl_add_u32 v22, v27, 3, v37
	ds_read_b64 v[22:23], v22 offset:8
.LBB2_212:
	s_or_saveexec_b64 s[14:15], s[14:15]
	s_waitcnt lgkmcnt(0)
	v_pk_mov_b32 v[24:25], v[20:21], v[20:21] op_sel:[0,1]
	s_xor_b64 exec, exec, s[14:15]
	s_cbranch_execz .LBB2_214
; %bb.213:
	v_lshl_add_u32 v22, v26, 3, v37
	ds_read_b64 v[24:25], v22 offset:8
	v_pk_mov_b32 v[22:23], v[18:19], v[18:19] op_sel:[0,1]
.LBB2_214:
	s_or_b64 exec, exec, s[14:15]
	v_add_u32_e32 v28, 1, v26
	v_add_u32_e32 v29, 1, v27
	v_cndmask_b32_e64 v31, v26, v28, s[26:27]
	v_cndmask_b32_e64 v30, v29, v27, s[26:27]
	v_cmp_lt_i32_e64 s[14:15], v31, v40
	s_mov_b64 s[28:29], 0
	s_and_saveexec_b64 s[30:31], s[14:15]
	s_cbranch_execz .LBB2_220
; %bb.215:
	v_cmp_lt_i32_e64 s[14:15], v30, v39
	s_waitcnt lgkmcnt(0)
	v_cmp_nlt_f32_e64 s[16:17], v24, v22
	s_and_b64 s[28:29], s[14:15], s[16:17]
	s_mov_b64 s[14:15], -1
	s_and_saveexec_b64 s[16:17], s[28:29]
	s_cbranch_execz .LBB2_219
; %bb.216:
	v_cmp_eq_f32_e64 s[14:15], v24, v22
	s_mov_b64 s[28:29], 0
	s_and_saveexec_b64 s[34:35], s[14:15]
; %bb.217:
	v_cmp_lt_f32_e64 s[14:15], v25, v23
	s_and_b64 s[28:29], s[14:15], exec
; %bb.218:
	s_or_b64 exec, exec, s[34:35]
	s_orn2_b64 s[14:15], s[28:29], exec
.LBB2_219:
	s_or_b64 exec, exec, s[16:17]
	s_and_b64 s[28:29], s[14:15], exec
.LBB2_220:
	s_or_b64 exec, exec, s[30:31]
	s_xor_b64 s[14:15], s[28:29], -1
                                        ; implicit-def: $vgpr26_vgpr27
	s_and_saveexec_b64 s[16:17], s[14:15]
	s_xor_b64 s[14:15], exec, s[16:17]
	s_cbranch_execz .LBB2_222
; %bb.221:
	v_lshl_add_u32 v26, v30, 3, v37
	ds_read_b64 v[26:27], v26 offset:8
.LBB2_222:
	s_or_saveexec_b64 s[14:15], s[14:15]
	s_waitcnt lgkmcnt(0)
	v_pk_mov_b32 v[28:29], v[24:25], v[24:25] op_sel:[0,1]
	s_xor_b64 exec, exec, s[14:15]
	s_cbranch_execz .LBB2_224
; %bb.223:
	v_lshl_add_u32 v26, v31, 3, v37
	ds_read_b64 v[28:29], v26 offset:8
	v_pk_mov_b32 v[26:27], v[22:23], v[22:23] op_sel:[0,1]
.LBB2_224:
	s_or_b64 exec, exec, s[14:15]
	v_add_u32_e32 v33, 1, v31
	v_cndmask_b32_e64 v41, v31, v33, s[28:29]
	v_add_u32_e32 v32, 1, v30
	v_cmp_ge_i32_e64 s[14:15], v41, v40
                                        ; implicit-def: $sgpr30_sgpr31
	s_and_saveexec_b64 s[16:17], s[14:15]
	s_xor_b64 s[14:15], exec, s[16:17]
; %bb.225:
	s_mov_b64 s[30:31], 0
; %bb.226:
	s_or_saveexec_b64 s[34:35], s[14:15]
	v_cndmask_b32_e64 v42, v32, v30, s[28:29]
	s_xor_b64 exec, exec, s[34:35]
	s_cbranch_execz .LBB2_232
; %bb.227:
	v_cmp_lt_i32_e64 s[14:15], v42, v39
	s_waitcnt lgkmcnt(0)
	v_cmp_nlt_f32_e64 s[16:17], v28, v26
	s_and_b64 s[36:37], s[14:15], s[16:17]
	s_mov_b64 s[14:15], -1
	s_and_saveexec_b64 s[16:17], s[36:37]
	s_cbranch_execz .LBB2_231
; %bb.228:
	v_cmp_eq_f32_e64 s[14:15], v28, v26
	s_mov_b64 s[36:37], 0
	s_and_saveexec_b64 s[38:39], s[14:15]
; %bb.229:
	v_cmp_lt_f32_e64 s[14:15], v29, v27
	s_and_b64 s[36:37], s[14:15], exec
; %bb.230:
	s_or_b64 exec, exec, s[38:39]
	s_orn2_b64 s[14:15], s[36:37], exec
.LBB2_231:
	s_or_b64 exec, exec, s[16:17]
	s_andn2_b64 s[16:17], s[30:31], exec
	s_and_b64 s[14:15], s[14:15], exec
	s_or_b64 s[30:31], s[16:17], s[14:15]
.LBB2_232:
	s_or_b64 exec, exec, s[34:35]
	s_xor_b64 s[14:15], s[30:31], -1
                                        ; implicit-def: $vgpr30_vgpr31
	s_and_saveexec_b64 s[16:17], s[14:15]
	s_xor_b64 s[14:15], exec, s[16:17]
	s_cbranch_execz .LBB2_234
; %bb.233:
	v_lshl_add_u32 v30, v42, 3, v37
	ds_read_b64 v[30:31], v30 offset:8
.LBB2_234:
	s_or_saveexec_b64 s[14:15], s[14:15]
	s_waitcnt lgkmcnt(0)
	v_pk_mov_b32 v[32:33], v[28:29], v[28:29] op_sel:[0,1]
	s_xor_b64 exec, exec, s[14:15]
	s_cbranch_execz .LBB2_236
; %bb.235:
	v_lshl_add_u32 v30, v41, 3, v37
	ds_read_b64 v[32:33], v30 offset:8
	v_pk_mov_b32 v[30:31], v[26:27], v[26:27] op_sel:[0,1]
.LBB2_236:
	s_or_b64 exec, exec, s[14:15]
	v_add_u32_e32 v43, 1, v41
	v_cndmask_b32_e64 v41, v41, v43, s[30:31]
	v_cmp_lt_i32_e64 s[14:15], v41, v40
	s_mov_b64 s[16:17], 0
	s_and_saveexec_b64 s[34:35], s[14:15]
	s_cbranch_execz .LBB2_242
; %bb.237:
	v_add_u32_e32 v40, 1, v42
	v_cndmask_b32_e64 v40, v40, v42, s[30:31]
	v_cmp_lt_i32_e64 s[14:15], v40, v39
	s_waitcnt lgkmcnt(0)
	v_cmp_nlt_f32_e64 s[16:17], v32, v30
	s_and_b64 s[36:37], s[14:15], s[16:17]
	s_mov_b64 s[14:15], -1
	s_and_saveexec_b64 s[16:17], s[36:37]
	s_cbranch_execz .LBB2_241
; %bb.238:
	v_cmp_eq_f32_e64 s[14:15], v32, v30
	s_mov_b64 s[36:37], 0
	s_and_saveexec_b64 s[38:39], s[14:15]
; %bb.239:
	v_cmp_lt_f32_e64 s[14:15], v33, v31
	s_and_b64 s[36:37], s[14:15], exec
; %bb.240:
	s_or_b64 exec, exec, s[38:39]
	s_orn2_b64 s[14:15], s[36:37], exec
.LBB2_241:
	s_or_b64 exec, exec, s[16:17]
	s_and_b64 s[16:17], s[14:15], exec
.LBB2_242:
	s_or_b64 exec, exec, s[34:35]
	v_cndmask_b32_e64 v7, v7, v9, s[20:21]
	v_cndmask_b32_e64 v6, v6, v8, s[20:21]
	;; [unrolled: 1-line block ×14, first 2 shown]
	s_waitcnt lgkmcnt(0)
	v_cndmask_b32_e64 v5, v31, v33, s[16:17]
	v_cndmask_b32_e64 v4, v30, v32, s[16:17]
	; wave barrier
	ds_write2_b64 v38, v[2:3], v[6:7] offset1:1
	ds_write2_b64 v38, v[10:11], v[14:15] offset0:2 offset1:3
	ds_write2_b64 v38, v[18:19], v[22:23] offset0:4 offset1:5
	;; [unrolled: 1-line block ×3, first 2 shown]
	v_and_b32_e32 v3, 0xe0, v36
	v_min_i32_e32 v6, v34, v3
	v_add_u32_e32 v3, 16, v6
	v_min_i32_e32 v39, v34, v3
	v_add_u32_e32 v3, 16, v39
	v_and_b32_e32 v2, 24, v36
	v_min_i32_e32 v40, v34, v3
	v_min_i32_e32 v2, v34, v2
	v_sub_u32_e32 v5, v40, v39
	v_sub_u32_e32 v4, v39, v6
	;; [unrolled: 1-line block ×3, first 2 shown]
	v_cmp_ge_i32_e64 s[14:15], v2, v5
	v_cndmask_b32_e64 v7, 0, v7, s[14:15]
	v_min_i32_e32 v4, v2, v4
	v_lshl_add_u32 v3, v6, 3, v37
	v_cmp_lt_i32_e64 s[14:15], v7, v4
	; wave barrier
	s_and_saveexec_b64 s[16:17], s[14:15]
	s_cbranch_execz .LBB2_250
; %bb.243:
	v_lshlrev_b32_e32 v5, 3, v39
	v_lshlrev_b32_e32 v8, 3, v2
	v_add3_u32 v5, v37, v5, v8
	s_mov_b64 s[18:19], 0
                                        ; implicit-def: $sgpr20_sgpr21
	s_branch .LBB2_246
.LBB2_244:                              ;   in Loop: Header=BB2_246 Depth=1
	s_or_b64 exec, exec, s[26:27]
	s_andn2_b64 s[14:15], s[20:21], exec
	s_and_b64 s[20:21], s[24:25], exec
	s_or_b64 s[20:21], s[14:15], s[20:21]
.LBB2_245:                              ;   in Loop: Header=BB2_246 Depth=1
	s_or_b64 exec, exec, s[22:23]
	v_add_u32_e32 v9, 1, v8
	v_cndmask_b32_e64 v4, v4, v8, s[20:21]
	v_cndmask_b32_e64 v7, v9, v7, s[20:21]
	v_cmp_ge_i32_e64 s[14:15], v7, v4
	s_or_b64 s[18:19], s[14:15], s[18:19]
	s_andn2_b64 exec, exec, s[18:19]
	s_cbranch_execz .LBB2_249
.LBB2_246:                              ; =>This Inner Loop Header: Depth=1
	v_sub_u32_e32 v8, v4, v7
	v_lshrrev_b32_e32 v9, 31, v8
	v_add_u32_e32 v8, v8, v9
	v_ashrrev_i32_e32 v8, 1, v8
	v_add_u32_e32 v8, v8, v7
	v_lshl_add_u32 v9, v8, 3, v3
	v_not_b32_e32 v10, v8
	v_lshl_add_u32 v10, v10, 3, v5
	ds_read_b32 v11, v9
	ds_read_b32 v12, v10
	s_or_b64 s[20:21], s[20:21], exec
	s_waitcnt lgkmcnt(0)
	v_cmp_nlt_f32_e64 s[14:15], v12, v11
	s_and_saveexec_b64 s[22:23], s[14:15]
	s_cbranch_execz .LBB2_245
; %bb.247:                              ;   in Loop: Header=BB2_246 Depth=1
	v_cmp_eq_f32_e64 s[14:15], v12, v11
	s_mov_b64 s[24:25], 0
	s_and_saveexec_b64 s[26:27], s[14:15]
	s_cbranch_execz .LBB2_244
; %bb.248:                              ;   in Loop: Header=BB2_246 Depth=1
	ds_read_b32 v10, v10 offset:4
	ds_read_b32 v9, v9 offset:4
	s_waitcnt lgkmcnt(0)
	v_cmp_lt_f32_e64 s[14:15], v10, v9
	s_and_b64 s[24:25], s[14:15], exec
	s_branch .LBB2_244
.LBB2_249:
	s_or_b64 exec, exec, s[18:19]
.LBB2_250:
	s_or_b64 exec, exec, s[16:17]
	v_add_u32_e32 v2, v39, v2
	v_sub_u32_e32 v10, v2, v7
	v_lshl_add_u32 v8, v7, 3, v3
	v_lshl_add_u32 v11, v10, 3, v37
	ds_read_b64 v[2:3], v8
	ds_read_b64 v[4:5], v11
	v_cmp_le_i32_e64 s[14:15], v40, v10
                                        ; implicit-def: $sgpr18_sgpr19
	s_and_saveexec_b64 s[16:17], s[14:15]
	s_xor_b64 s[14:15], exec, s[16:17]
; %bb.251:
	s_mov_b64 s[18:19], 0
; %bb.252:
	s_or_saveexec_b64 s[20:21], s[14:15]
	v_add_u32_e32 v12, v7, v6
	s_xor_b64 exec, exec, s[20:21]
	s_cbranch_execz .LBB2_258
; %bb.253:
	v_cmp_gt_i32_e64 s[14:15], v39, v12
	s_waitcnt lgkmcnt(0)
	v_cmp_nlt_f32_e64 s[16:17], v4, v2
	s_and_b64 s[22:23], s[14:15], s[16:17]
	s_mov_b64 s[14:15], -1
	s_and_saveexec_b64 s[16:17], s[22:23]
	s_cbranch_execz .LBB2_257
; %bb.254:
	v_cmp_eq_f32_e64 s[14:15], v4, v2
	s_mov_b64 s[22:23], 0
	s_and_saveexec_b64 s[24:25], s[14:15]
; %bb.255:
	v_cmp_lt_f32_e64 s[14:15], v5, v3
	s_and_b64 s[22:23], s[14:15], exec
; %bb.256:
	s_or_b64 exec, exec, s[24:25]
	s_orn2_b64 s[14:15], s[22:23], exec
.LBB2_257:
	s_or_b64 exec, exec, s[16:17]
	s_andn2_b64 s[16:17], s[18:19], exec
	s_and_b64 s[14:15], s[14:15], exec
	s_or_b64 s[18:19], s[16:17], s[14:15]
.LBB2_258:
	s_or_b64 exec, exec, s[20:21]
	s_xor_b64 s[14:15], s[18:19], -1
                                        ; implicit-def: $vgpr6_vgpr7
	s_and_saveexec_b64 s[16:17], s[14:15]
	s_xor_b64 s[14:15], exec, s[16:17]
	s_cbranch_execz .LBB2_260
; %bb.259:
	ds_read_b64 v[6:7], v8 offset:8
                                        ; implicit-def: $vgpr11
.LBB2_260:
	s_or_saveexec_b64 s[14:15], s[14:15]
	s_waitcnt lgkmcnt(0)
	v_pk_mov_b32 v[8:9], v[4:5], v[4:5] op_sel:[0,1]
	s_xor_b64 exec, exec, s[14:15]
	s_cbranch_execz .LBB2_262
; %bb.261:
	ds_read_b64 v[8:9], v11 offset:8
	v_pk_mov_b32 v[6:7], v[2:3], v[2:3] op_sel:[0,1]
.LBB2_262:
	s_or_b64 exec, exec, s[14:15]
	v_add_u32_e32 v11, 1, v10
	v_add_u32_e32 v13, 1, v12
	v_cndmask_b32_e64 v15, v10, v11, s[18:19]
	v_cndmask_b32_e64 v14, v13, v12, s[18:19]
	v_cmp_lt_i32_e64 s[14:15], v15, v40
	s_mov_b64 s[20:21], 0
	s_and_saveexec_b64 s[22:23], s[14:15]
	s_cbranch_execz .LBB2_268
; %bb.263:
	v_cmp_lt_i32_e64 s[14:15], v14, v39
	s_waitcnt lgkmcnt(0)
	v_cmp_nlt_f32_e64 s[16:17], v8, v6
	s_and_b64 s[20:21], s[14:15], s[16:17]
	s_mov_b64 s[14:15], -1
	s_and_saveexec_b64 s[16:17], s[20:21]
	s_cbranch_execz .LBB2_267
; %bb.264:
	v_cmp_eq_f32_e64 s[14:15], v8, v6
	s_mov_b64 s[20:21], 0
	s_and_saveexec_b64 s[24:25], s[14:15]
; %bb.265:
	v_cmp_lt_f32_e64 s[14:15], v9, v7
	s_and_b64 s[20:21], s[14:15], exec
; %bb.266:
	s_or_b64 exec, exec, s[24:25]
	s_orn2_b64 s[14:15], s[20:21], exec
.LBB2_267:
	s_or_b64 exec, exec, s[16:17]
	s_and_b64 s[20:21], s[14:15], exec
.LBB2_268:
	s_or_b64 exec, exec, s[22:23]
	s_xor_b64 s[14:15], s[20:21], -1
                                        ; implicit-def: $vgpr10_vgpr11
	s_and_saveexec_b64 s[16:17], s[14:15]
	s_xor_b64 s[14:15], exec, s[16:17]
	s_cbranch_execz .LBB2_270
; %bb.269:
	v_lshl_add_u32 v10, v14, 3, v37
	ds_read_b64 v[10:11], v10 offset:8
.LBB2_270:
	s_or_saveexec_b64 s[14:15], s[14:15]
	s_waitcnt lgkmcnt(0)
	v_pk_mov_b32 v[12:13], v[8:9], v[8:9] op_sel:[0,1]
	s_xor_b64 exec, exec, s[14:15]
	s_cbranch_execz .LBB2_272
; %bb.271:
	v_lshl_add_u32 v10, v15, 3, v37
	ds_read_b64 v[12:13], v10 offset:8
	v_pk_mov_b32 v[10:11], v[6:7], v[6:7] op_sel:[0,1]
.LBB2_272:
	s_or_b64 exec, exec, s[14:15]
	v_add_u32_e32 v17, 1, v15
	v_cndmask_b32_e64 v18, v15, v17, s[20:21]
	v_add_u32_e32 v16, 1, v14
	v_cmp_ge_i32_e64 s[14:15], v18, v40
                                        ; implicit-def: $sgpr22_sgpr23
	s_and_saveexec_b64 s[16:17], s[14:15]
	s_xor_b64 s[14:15], exec, s[16:17]
; %bb.273:
	s_mov_b64 s[22:23], 0
; %bb.274:
	s_or_saveexec_b64 s[24:25], s[14:15]
	v_cndmask_b32_e64 v19, v16, v14, s[20:21]
	s_xor_b64 exec, exec, s[24:25]
	s_cbranch_execz .LBB2_280
; %bb.275:
	v_cmp_lt_i32_e64 s[14:15], v19, v39
	s_waitcnt lgkmcnt(0)
	v_cmp_nlt_f32_e64 s[16:17], v12, v10
	s_and_b64 s[26:27], s[14:15], s[16:17]
	s_mov_b64 s[14:15], -1
	s_and_saveexec_b64 s[16:17], s[26:27]
	s_cbranch_execz .LBB2_279
; %bb.276:
	v_cmp_eq_f32_e64 s[14:15], v12, v10
	s_mov_b64 s[26:27], 0
	s_and_saveexec_b64 s[28:29], s[14:15]
; %bb.277:
	v_cmp_lt_f32_e64 s[14:15], v13, v11
	s_and_b64 s[26:27], s[14:15], exec
; %bb.278:
	s_or_b64 exec, exec, s[28:29]
	s_orn2_b64 s[14:15], s[26:27], exec
.LBB2_279:
	s_or_b64 exec, exec, s[16:17]
	s_andn2_b64 s[16:17], s[22:23], exec
	s_and_b64 s[14:15], s[14:15], exec
	s_or_b64 s[22:23], s[16:17], s[14:15]
.LBB2_280:
	s_or_b64 exec, exec, s[24:25]
	s_xor_b64 s[14:15], s[22:23], -1
                                        ; implicit-def: $vgpr14_vgpr15
	s_and_saveexec_b64 s[16:17], s[14:15]
	s_xor_b64 s[14:15], exec, s[16:17]
	s_cbranch_execz .LBB2_282
; %bb.281:
	v_lshl_add_u32 v14, v19, 3, v37
	ds_read_b64 v[14:15], v14 offset:8
.LBB2_282:
	s_or_saveexec_b64 s[14:15], s[14:15]
	s_waitcnt lgkmcnt(0)
	v_pk_mov_b32 v[16:17], v[12:13], v[12:13] op_sel:[0,1]
	s_xor_b64 exec, exec, s[14:15]
	s_cbranch_execz .LBB2_284
; %bb.283:
	v_lshl_add_u32 v14, v18, 3, v37
	ds_read_b64 v[16:17], v14 offset:8
	v_pk_mov_b32 v[14:15], v[10:11], v[10:11] op_sel:[0,1]
.LBB2_284:
	s_or_b64 exec, exec, s[14:15]
	v_add_u32_e32 v20, 1, v18
	v_add_u32_e32 v21, 1, v19
	v_cndmask_b32_e64 v23, v18, v20, s[22:23]
	v_cndmask_b32_e64 v22, v21, v19, s[22:23]
	v_cmp_lt_i32_e64 s[14:15], v23, v40
	s_mov_b64 s[24:25], 0
	s_and_saveexec_b64 s[26:27], s[14:15]
	s_cbranch_execz .LBB2_290
; %bb.285:
	v_cmp_lt_i32_e64 s[14:15], v22, v39
	s_waitcnt lgkmcnt(0)
	v_cmp_nlt_f32_e64 s[16:17], v16, v14
	s_and_b64 s[24:25], s[14:15], s[16:17]
	s_mov_b64 s[14:15], -1
	s_and_saveexec_b64 s[16:17], s[24:25]
	s_cbranch_execz .LBB2_289
; %bb.286:
	v_cmp_eq_f32_e64 s[14:15], v16, v14
	s_mov_b64 s[24:25], 0
	s_and_saveexec_b64 s[28:29], s[14:15]
; %bb.287:
	v_cmp_lt_f32_e64 s[14:15], v17, v15
	s_and_b64 s[24:25], s[14:15], exec
; %bb.288:
	s_or_b64 exec, exec, s[28:29]
	s_orn2_b64 s[14:15], s[24:25], exec
.LBB2_289:
	s_or_b64 exec, exec, s[16:17]
	s_and_b64 s[24:25], s[14:15], exec
.LBB2_290:
	s_or_b64 exec, exec, s[26:27]
	s_xor_b64 s[14:15], s[24:25], -1
                                        ; implicit-def: $vgpr18_vgpr19
	s_and_saveexec_b64 s[16:17], s[14:15]
	s_xor_b64 s[14:15], exec, s[16:17]
	s_cbranch_execz .LBB2_292
; %bb.291:
	v_lshl_add_u32 v18, v22, 3, v37
	ds_read_b64 v[18:19], v18 offset:8
.LBB2_292:
	s_or_saveexec_b64 s[14:15], s[14:15]
	s_waitcnt lgkmcnt(0)
	v_pk_mov_b32 v[20:21], v[16:17], v[16:17] op_sel:[0,1]
	s_xor_b64 exec, exec, s[14:15]
	s_cbranch_execz .LBB2_294
; %bb.293:
	v_lshl_add_u32 v18, v23, 3, v37
	ds_read_b64 v[20:21], v18 offset:8
	v_pk_mov_b32 v[18:19], v[14:15], v[14:15] op_sel:[0,1]
.LBB2_294:
	s_or_b64 exec, exec, s[14:15]
	v_add_u32_e32 v25, 1, v23
	v_cndmask_b32_e64 v26, v23, v25, s[24:25]
	v_add_u32_e32 v24, 1, v22
	v_cmp_ge_i32_e64 s[14:15], v26, v40
                                        ; implicit-def: $sgpr26_sgpr27
	s_and_saveexec_b64 s[16:17], s[14:15]
	s_xor_b64 s[14:15], exec, s[16:17]
; %bb.295:
	s_mov_b64 s[26:27], 0
; %bb.296:
	s_or_saveexec_b64 s[28:29], s[14:15]
	v_cndmask_b32_e64 v27, v24, v22, s[24:25]
	s_xor_b64 exec, exec, s[28:29]
	s_cbranch_execz .LBB2_302
; %bb.297:
	v_cmp_lt_i32_e64 s[14:15], v27, v39
	s_waitcnt lgkmcnt(0)
	v_cmp_nlt_f32_e64 s[16:17], v20, v18
	s_and_b64 s[30:31], s[14:15], s[16:17]
	s_mov_b64 s[14:15], -1
	s_and_saveexec_b64 s[16:17], s[30:31]
	s_cbranch_execz .LBB2_301
; %bb.298:
	v_cmp_eq_f32_e64 s[14:15], v20, v18
	s_mov_b64 s[30:31], 0
	s_and_saveexec_b64 s[34:35], s[14:15]
; %bb.299:
	v_cmp_lt_f32_e64 s[14:15], v21, v19
	s_and_b64 s[30:31], s[14:15], exec
; %bb.300:
	s_or_b64 exec, exec, s[34:35]
	s_orn2_b64 s[14:15], s[30:31], exec
.LBB2_301:
	s_or_b64 exec, exec, s[16:17]
	s_andn2_b64 s[16:17], s[26:27], exec
	s_and_b64 s[14:15], s[14:15], exec
	s_or_b64 s[26:27], s[16:17], s[14:15]
.LBB2_302:
	s_or_b64 exec, exec, s[28:29]
	s_xor_b64 s[14:15], s[26:27], -1
                                        ; implicit-def: $vgpr22_vgpr23
	s_and_saveexec_b64 s[16:17], s[14:15]
	s_xor_b64 s[14:15], exec, s[16:17]
	s_cbranch_execz .LBB2_304
; %bb.303:
	v_lshl_add_u32 v22, v27, 3, v37
	ds_read_b64 v[22:23], v22 offset:8
.LBB2_304:
	s_or_saveexec_b64 s[14:15], s[14:15]
	s_waitcnt lgkmcnt(0)
	v_pk_mov_b32 v[24:25], v[20:21], v[20:21] op_sel:[0,1]
	s_xor_b64 exec, exec, s[14:15]
	s_cbranch_execz .LBB2_306
; %bb.305:
	v_lshl_add_u32 v22, v26, 3, v37
	ds_read_b64 v[24:25], v22 offset:8
	v_pk_mov_b32 v[22:23], v[18:19], v[18:19] op_sel:[0,1]
.LBB2_306:
	s_or_b64 exec, exec, s[14:15]
	v_add_u32_e32 v28, 1, v26
	v_add_u32_e32 v29, 1, v27
	v_cndmask_b32_e64 v31, v26, v28, s[26:27]
	v_cndmask_b32_e64 v30, v29, v27, s[26:27]
	v_cmp_lt_i32_e64 s[14:15], v31, v40
	s_mov_b64 s[28:29], 0
	s_and_saveexec_b64 s[30:31], s[14:15]
	s_cbranch_execz .LBB2_312
; %bb.307:
	v_cmp_lt_i32_e64 s[14:15], v30, v39
	s_waitcnt lgkmcnt(0)
	v_cmp_nlt_f32_e64 s[16:17], v24, v22
	s_and_b64 s[28:29], s[14:15], s[16:17]
	s_mov_b64 s[14:15], -1
	s_and_saveexec_b64 s[16:17], s[28:29]
	s_cbranch_execz .LBB2_311
; %bb.308:
	v_cmp_eq_f32_e64 s[14:15], v24, v22
	s_mov_b64 s[28:29], 0
	s_and_saveexec_b64 s[34:35], s[14:15]
; %bb.309:
	v_cmp_lt_f32_e64 s[14:15], v25, v23
	s_and_b64 s[28:29], s[14:15], exec
; %bb.310:
	s_or_b64 exec, exec, s[34:35]
	s_orn2_b64 s[14:15], s[28:29], exec
.LBB2_311:
	s_or_b64 exec, exec, s[16:17]
	s_and_b64 s[28:29], s[14:15], exec
.LBB2_312:
	s_or_b64 exec, exec, s[30:31]
	s_xor_b64 s[14:15], s[28:29], -1
                                        ; implicit-def: $vgpr26_vgpr27
	s_and_saveexec_b64 s[16:17], s[14:15]
	s_xor_b64 s[14:15], exec, s[16:17]
	s_cbranch_execz .LBB2_314
; %bb.313:
	v_lshl_add_u32 v26, v30, 3, v37
	ds_read_b64 v[26:27], v26 offset:8
.LBB2_314:
	s_or_saveexec_b64 s[14:15], s[14:15]
	s_waitcnt lgkmcnt(0)
	v_pk_mov_b32 v[28:29], v[24:25], v[24:25] op_sel:[0,1]
	s_xor_b64 exec, exec, s[14:15]
	s_cbranch_execz .LBB2_316
; %bb.315:
	v_lshl_add_u32 v26, v31, 3, v37
	ds_read_b64 v[28:29], v26 offset:8
	v_pk_mov_b32 v[26:27], v[22:23], v[22:23] op_sel:[0,1]
.LBB2_316:
	s_or_b64 exec, exec, s[14:15]
	v_add_u32_e32 v33, 1, v31
	v_cndmask_b32_e64 v41, v31, v33, s[28:29]
	v_add_u32_e32 v32, 1, v30
	v_cmp_ge_i32_e64 s[14:15], v41, v40
                                        ; implicit-def: $sgpr30_sgpr31
	s_and_saveexec_b64 s[16:17], s[14:15]
	s_xor_b64 s[14:15], exec, s[16:17]
; %bb.317:
	s_mov_b64 s[30:31], 0
; %bb.318:
	s_or_saveexec_b64 s[34:35], s[14:15]
	v_cndmask_b32_e64 v42, v32, v30, s[28:29]
	s_xor_b64 exec, exec, s[34:35]
	s_cbranch_execz .LBB2_324
; %bb.319:
	v_cmp_lt_i32_e64 s[14:15], v42, v39
	s_waitcnt lgkmcnt(0)
	v_cmp_nlt_f32_e64 s[16:17], v28, v26
	s_and_b64 s[36:37], s[14:15], s[16:17]
	s_mov_b64 s[14:15], -1
	s_and_saveexec_b64 s[16:17], s[36:37]
	s_cbranch_execz .LBB2_323
; %bb.320:
	v_cmp_eq_f32_e64 s[14:15], v28, v26
	s_mov_b64 s[36:37], 0
	s_and_saveexec_b64 s[38:39], s[14:15]
; %bb.321:
	v_cmp_lt_f32_e64 s[14:15], v29, v27
	s_and_b64 s[36:37], s[14:15], exec
; %bb.322:
	s_or_b64 exec, exec, s[38:39]
	s_orn2_b64 s[14:15], s[36:37], exec
.LBB2_323:
	s_or_b64 exec, exec, s[16:17]
	s_andn2_b64 s[16:17], s[30:31], exec
	s_and_b64 s[14:15], s[14:15], exec
	s_or_b64 s[30:31], s[16:17], s[14:15]
.LBB2_324:
	s_or_b64 exec, exec, s[34:35]
	s_xor_b64 s[14:15], s[30:31], -1
                                        ; implicit-def: $vgpr30_vgpr31
	s_and_saveexec_b64 s[16:17], s[14:15]
	s_xor_b64 s[14:15], exec, s[16:17]
	s_cbranch_execz .LBB2_326
; %bb.325:
	v_lshl_add_u32 v30, v42, 3, v37
	ds_read_b64 v[30:31], v30 offset:8
.LBB2_326:
	s_or_saveexec_b64 s[14:15], s[14:15]
	s_waitcnt lgkmcnt(0)
	v_pk_mov_b32 v[32:33], v[28:29], v[28:29] op_sel:[0,1]
	s_xor_b64 exec, exec, s[14:15]
	s_cbranch_execz .LBB2_328
; %bb.327:
	v_lshl_add_u32 v30, v41, 3, v37
	ds_read_b64 v[32:33], v30 offset:8
	v_pk_mov_b32 v[30:31], v[26:27], v[26:27] op_sel:[0,1]
.LBB2_328:
	s_or_b64 exec, exec, s[14:15]
	v_add_u32_e32 v43, 1, v41
	v_cndmask_b32_e64 v41, v41, v43, s[30:31]
	v_cmp_lt_i32_e64 s[14:15], v41, v40
	s_mov_b64 s[16:17], 0
	s_and_saveexec_b64 s[34:35], s[14:15]
	s_cbranch_execz .LBB2_334
; %bb.329:
	v_add_u32_e32 v40, 1, v42
	v_cndmask_b32_e64 v40, v40, v42, s[30:31]
	v_cmp_lt_i32_e64 s[14:15], v40, v39
	s_waitcnt lgkmcnt(0)
	v_cmp_nlt_f32_e64 s[16:17], v32, v30
	s_and_b64 s[36:37], s[14:15], s[16:17]
	s_mov_b64 s[14:15], -1
	s_and_saveexec_b64 s[16:17], s[36:37]
	s_cbranch_execz .LBB2_333
; %bb.330:
	v_cmp_eq_f32_e64 s[14:15], v32, v30
	s_mov_b64 s[36:37], 0
	s_and_saveexec_b64 s[38:39], s[14:15]
; %bb.331:
	v_cmp_lt_f32_e64 s[14:15], v33, v31
	s_and_b64 s[36:37], s[14:15], exec
; %bb.332:
	s_or_b64 exec, exec, s[38:39]
	s_orn2_b64 s[14:15], s[36:37], exec
.LBB2_333:
	s_or_b64 exec, exec, s[16:17]
	s_and_b64 s[16:17], s[14:15], exec
.LBB2_334:
	s_or_b64 exec, exec, s[34:35]
	v_cndmask_b32_e64 v7, v7, v9, s[20:21]
	v_cndmask_b32_e64 v6, v6, v8, s[20:21]
	;; [unrolled: 1-line block ×14, first 2 shown]
	s_waitcnt lgkmcnt(0)
	v_cndmask_b32_e64 v5, v31, v33, s[16:17]
	v_cndmask_b32_e64 v4, v30, v32, s[16:17]
	; wave barrier
	ds_write2_b64 v38, v[2:3], v[6:7] offset1:1
	ds_write2_b64 v38, v[10:11], v[14:15] offset0:2 offset1:3
	ds_write2_b64 v38, v[18:19], v[22:23] offset0:4 offset1:5
	;; [unrolled: 1-line block ×3, first 2 shown]
	v_and_b32_e32 v3, 0xc0, v36
	v_min_i32_e32 v6, v34, v3
	v_add_u32_e32 v3, 32, v6
	v_min_i32_e32 v39, v34, v3
	v_add_u32_e32 v3, 32, v39
	v_and_b32_e32 v2, 56, v36
	v_min_i32_e32 v40, v34, v3
	v_min_i32_e32 v2, v34, v2
	v_sub_u32_e32 v5, v40, v39
	v_sub_u32_e32 v4, v39, v6
	;; [unrolled: 1-line block ×3, first 2 shown]
	v_cmp_ge_i32_e64 s[14:15], v2, v5
	v_cndmask_b32_e64 v7, 0, v7, s[14:15]
	v_min_i32_e32 v4, v2, v4
	v_lshl_add_u32 v3, v6, 3, v37
	v_cmp_lt_i32_e64 s[14:15], v7, v4
	; wave barrier
	s_and_saveexec_b64 s[16:17], s[14:15]
	s_cbranch_execz .LBB2_342
; %bb.335:
	v_lshlrev_b32_e32 v5, 3, v39
	v_lshlrev_b32_e32 v8, 3, v2
	v_add3_u32 v5, v37, v5, v8
	s_mov_b64 s[18:19], 0
                                        ; implicit-def: $sgpr20_sgpr21
	s_branch .LBB2_338
.LBB2_336:                              ;   in Loop: Header=BB2_338 Depth=1
	s_or_b64 exec, exec, s[26:27]
	s_andn2_b64 s[14:15], s[20:21], exec
	s_and_b64 s[20:21], s[24:25], exec
	s_or_b64 s[20:21], s[14:15], s[20:21]
.LBB2_337:                              ;   in Loop: Header=BB2_338 Depth=1
	s_or_b64 exec, exec, s[22:23]
	v_add_u32_e32 v9, 1, v8
	v_cndmask_b32_e64 v4, v4, v8, s[20:21]
	v_cndmask_b32_e64 v7, v9, v7, s[20:21]
	v_cmp_ge_i32_e64 s[14:15], v7, v4
	s_or_b64 s[18:19], s[14:15], s[18:19]
	s_andn2_b64 exec, exec, s[18:19]
	s_cbranch_execz .LBB2_341
.LBB2_338:                              ; =>This Inner Loop Header: Depth=1
	v_sub_u32_e32 v8, v4, v7
	v_lshrrev_b32_e32 v9, 31, v8
	v_add_u32_e32 v8, v8, v9
	v_ashrrev_i32_e32 v8, 1, v8
	v_add_u32_e32 v8, v8, v7
	v_lshl_add_u32 v9, v8, 3, v3
	v_not_b32_e32 v10, v8
	v_lshl_add_u32 v10, v10, 3, v5
	ds_read_b32 v11, v9
	ds_read_b32 v12, v10
	s_or_b64 s[20:21], s[20:21], exec
	s_waitcnt lgkmcnt(0)
	v_cmp_nlt_f32_e64 s[14:15], v12, v11
	s_and_saveexec_b64 s[22:23], s[14:15]
	s_cbranch_execz .LBB2_337
; %bb.339:                              ;   in Loop: Header=BB2_338 Depth=1
	v_cmp_eq_f32_e64 s[14:15], v12, v11
	s_mov_b64 s[24:25], 0
	s_and_saveexec_b64 s[26:27], s[14:15]
	s_cbranch_execz .LBB2_336
; %bb.340:                              ;   in Loop: Header=BB2_338 Depth=1
	ds_read_b32 v10, v10 offset:4
	ds_read_b32 v9, v9 offset:4
	s_waitcnt lgkmcnt(0)
	v_cmp_lt_f32_e64 s[14:15], v10, v9
	s_and_b64 s[24:25], s[14:15], exec
	s_branch .LBB2_336
.LBB2_341:
	s_or_b64 exec, exec, s[18:19]
.LBB2_342:
	s_or_b64 exec, exec, s[16:17]
	v_add_u32_e32 v2, v39, v2
	v_sub_u32_e32 v10, v2, v7
	v_lshl_add_u32 v8, v7, 3, v3
	v_lshl_add_u32 v11, v10, 3, v37
	ds_read_b64 v[2:3], v8
	ds_read_b64 v[4:5], v11
	v_cmp_le_i32_e64 s[14:15], v40, v10
                                        ; implicit-def: $sgpr18_sgpr19
	s_and_saveexec_b64 s[16:17], s[14:15]
	s_xor_b64 s[14:15], exec, s[16:17]
; %bb.343:
	s_mov_b64 s[18:19], 0
; %bb.344:
	s_or_saveexec_b64 s[20:21], s[14:15]
	v_add_u32_e32 v12, v7, v6
	s_xor_b64 exec, exec, s[20:21]
	s_cbranch_execz .LBB2_350
; %bb.345:
	v_cmp_gt_i32_e64 s[14:15], v39, v12
	s_waitcnt lgkmcnt(0)
	v_cmp_nlt_f32_e64 s[16:17], v4, v2
	s_and_b64 s[22:23], s[14:15], s[16:17]
	s_mov_b64 s[14:15], -1
	s_and_saveexec_b64 s[16:17], s[22:23]
	s_cbranch_execz .LBB2_349
; %bb.346:
	v_cmp_eq_f32_e64 s[14:15], v4, v2
	s_mov_b64 s[22:23], 0
	s_and_saveexec_b64 s[24:25], s[14:15]
; %bb.347:
	v_cmp_lt_f32_e64 s[14:15], v5, v3
	s_and_b64 s[22:23], s[14:15], exec
; %bb.348:
	s_or_b64 exec, exec, s[24:25]
	s_orn2_b64 s[14:15], s[22:23], exec
.LBB2_349:
	s_or_b64 exec, exec, s[16:17]
	s_andn2_b64 s[16:17], s[18:19], exec
	s_and_b64 s[14:15], s[14:15], exec
	s_or_b64 s[18:19], s[16:17], s[14:15]
.LBB2_350:
	s_or_b64 exec, exec, s[20:21]
	s_xor_b64 s[14:15], s[18:19], -1
                                        ; implicit-def: $vgpr6_vgpr7
	s_and_saveexec_b64 s[16:17], s[14:15]
	s_xor_b64 s[14:15], exec, s[16:17]
	s_cbranch_execz .LBB2_352
; %bb.351:
	ds_read_b64 v[6:7], v8 offset:8
                                        ; implicit-def: $vgpr11
.LBB2_352:
	s_or_saveexec_b64 s[14:15], s[14:15]
	s_waitcnt lgkmcnt(0)
	v_pk_mov_b32 v[8:9], v[4:5], v[4:5] op_sel:[0,1]
	s_xor_b64 exec, exec, s[14:15]
	s_cbranch_execz .LBB2_354
; %bb.353:
	ds_read_b64 v[8:9], v11 offset:8
	v_pk_mov_b32 v[6:7], v[2:3], v[2:3] op_sel:[0,1]
.LBB2_354:
	s_or_b64 exec, exec, s[14:15]
	v_add_u32_e32 v11, 1, v10
	v_add_u32_e32 v13, 1, v12
	v_cndmask_b32_e64 v15, v10, v11, s[18:19]
	v_cndmask_b32_e64 v14, v13, v12, s[18:19]
	v_cmp_lt_i32_e64 s[14:15], v15, v40
	s_mov_b64 s[20:21], 0
	s_and_saveexec_b64 s[22:23], s[14:15]
	s_cbranch_execz .LBB2_360
; %bb.355:
	v_cmp_lt_i32_e64 s[14:15], v14, v39
	s_waitcnt lgkmcnt(0)
	v_cmp_nlt_f32_e64 s[16:17], v8, v6
	s_and_b64 s[20:21], s[14:15], s[16:17]
	s_mov_b64 s[14:15], -1
	s_and_saveexec_b64 s[16:17], s[20:21]
	s_cbranch_execz .LBB2_359
; %bb.356:
	v_cmp_eq_f32_e64 s[14:15], v8, v6
	s_mov_b64 s[20:21], 0
	s_and_saveexec_b64 s[24:25], s[14:15]
; %bb.357:
	v_cmp_lt_f32_e64 s[14:15], v9, v7
	s_and_b64 s[20:21], s[14:15], exec
; %bb.358:
	s_or_b64 exec, exec, s[24:25]
	s_orn2_b64 s[14:15], s[20:21], exec
.LBB2_359:
	s_or_b64 exec, exec, s[16:17]
	s_and_b64 s[20:21], s[14:15], exec
.LBB2_360:
	s_or_b64 exec, exec, s[22:23]
	s_xor_b64 s[14:15], s[20:21], -1
                                        ; implicit-def: $vgpr10_vgpr11
	s_and_saveexec_b64 s[16:17], s[14:15]
	s_xor_b64 s[14:15], exec, s[16:17]
	s_cbranch_execz .LBB2_362
; %bb.361:
	v_lshl_add_u32 v10, v14, 3, v37
	ds_read_b64 v[10:11], v10 offset:8
.LBB2_362:
	s_or_saveexec_b64 s[14:15], s[14:15]
	s_waitcnt lgkmcnt(0)
	v_pk_mov_b32 v[12:13], v[8:9], v[8:9] op_sel:[0,1]
	s_xor_b64 exec, exec, s[14:15]
	s_cbranch_execz .LBB2_364
; %bb.363:
	v_lshl_add_u32 v10, v15, 3, v37
	ds_read_b64 v[12:13], v10 offset:8
	v_pk_mov_b32 v[10:11], v[6:7], v[6:7] op_sel:[0,1]
.LBB2_364:
	s_or_b64 exec, exec, s[14:15]
	v_add_u32_e32 v17, 1, v15
	v_cndmask_b32_e64 v18, v15, v17, s[20:21]
	v_add_u32_e32 v16, 1, v14
	v_cmp_ge_i32_e64 s[14:15], v18, v40
                                        ; implicit-def: $sgpr22_sgpr23
	s_and_saveexec_b64 s[16:17], s[14:15]
	s_xor_b64 s[14:15], exec, s[16:17]
; %bb.365:
	s_mov_b64 s[22:23], 0
; %bb.366:
	s_or_saveexec_b64 s[24:25], s[14:15]
	v_cndmask_b32_e64 v19, v16, v14, s[20:21]
	s_xor_b64 exec, exec, s[24:25]
	s_cbranch_execz .LBB2_372
; %bb.367:
	v_cmp_lt_i32_e64 s[14:15], v19, v39
	s_waitcnt lgkmcnt(0)
	v_cmp_nlt_f32_e64 s[16:17], v12, v10
	s_and_b64 s[26:27], s[14:15], s[16:17]
	s_mov_b64 s[14:15], -1
	s_and_saveexec_b64 s[16:17], s[26:27]
	s_cbranch_execz .LBB2_371
; %bb.368:
	v_cmp_eq_f32_e64 s[14:15], v12, v10
	s_mov_b64 s[26:27], 0
	s_and_saveexec_b64 s[28:29], s[14:15]
; %bb.369:
	v_cmp_lt_f32_e64 s[14:15], v13, v11
	s_and_b64 s[26:27], s[14:15], exec
; %bb.370:
	s_or_b64 exec, exec, s[28:29]
	s_orn2_b64 s[14:15], s[26:27], exec
.LBB2_371:
	s_or_b64 exec, exec, s[16:17]
	s_andn2_b64 s[16:17], s[22:23], exec
	s_and_b64 s[14:15], s[14:15], exec
	s_or_b64 s[22:23], s[16:17], s[14:15]
.LBB2_372:
	s_or_b64 exec, exec, s[24:25]
	s_xor_b64 s[14:15], s[22:23], -1
                                        ; implicit-def: $vgpr14_vgpr15
	s_and_saveexec_b64 s[16:17], s[14:15]
	s_xor_b64 s[14:15], exec, s[16:17]
	s_cbranch_execz .LBB2_374
; %bb.373:
	v_lshl_add_u32 v14, v19, 3, v37
	ds_read_b64 v[14:15], v14 offset:8
.LBB2_374:
	s_or_saveexec_b64 s[14:15], s[14:15]
	s_waitcnt lgkmcnt(0)
	v_pk_mov_b32 v[16:17], v[12:13], v[12:13] op_sel:[0,1]
	s_xor_b64 exec, exec, s[14:15]
	s_cbranch_execz .LBB2_376
; %bb.375:
	v_lshl_add_u32 v14, v18, 3, v37
	ds_read_b64 v[16:17], v14 offset:8
	v_pk_mov_b32 v[14:15], v[10:11], v[10:11] op_sel:[0,1]
.LBB2_376:
	s_or_b64 exec, exec, s[14:15]
	v_add_u32_e32 v20, 1, v18
	v_add_u32_e32 v21, 1, v19
	v_cndmask_b32_e64 v23, v18, v20, s[22:23]
	v_cndmask_b32_e64 v22, v21, v19, s[22:23]
	v_cmp_lt_i32_e64 s[14:15], v23, v40
	s_mov_b64 s[24:25], 0
	s_and_saveexec_b64 s[26:27], s[14:15]
	s_cbranch_execz .LBB2_382
; %bb.377:
	v_cmp_lt_i32_e64 s[14:15], v22, v39
	s_waitcnt lgkmcnt(0)
	v_cmp_nlt_f32_e64 s[16:17], v16, v14
	s_and_b64 s[24:25], s[14:15], s[16:17]
	s_mov_b64 s[14:15], -1
	s_and_saveexec_b64 s[16:17], s[24:25]
	s_cbranch_execz .LBB2_381
; %bb.378:
	v_cmp_eq_f32_e64 s[14:15], v16, v14
	s_mov_b64 s[24:25], 0
	s_and_saveexec_b64 s[28:29], s[14:15]
; %bb.379:
	v_cmp_lt_f32_e64 s[14:15], v17, v15
	s_and_b64 s[24:25], s[14:15], exec
; %bb.380:
	s_or_b64 exec, exec, s[28:29]
	s_orn2_b64 s[14:15], s[24:25], exec
.LBB2_381:
	s_or_b64 exec, exec, s[16:17]
	s_and_b64 s[24:25], s[14:15], exec
.LBB2_382:
	s_or_b64 exec, exec, s[26:27]
	s_xor_b64 s[14:15], s[24:25], -1
                                        ; implicit-def: $vgpr18_vgpr19
	s_and_saveexec_b64 s[16:17], s[14:15]
	s_xor_b64 s[14:15], exec, s[16:17]
	s_cbranch_execz .LBB2_384
; %bb.383:
	v_lshl_add_u32 v18, v22, 3, v37
	ds_read_b64 v[18:19], v18 offset:8
.LBB2_384:
	s_or_saveexec_b64 s[14:15], s[14:15]
	s_waitcnt lgkmcnt(0)
	v_pk_mov_b32 v[20:21], v[16:17], v[16:17] op_sel:[0,1]
	s_xor_b64 exec, exec, s[14:15]
	s_cbranch_execz .LBB2_386
; %bb.385:
	v_lshl_add_u32 v18, v23, 3, v37
	ds_read_b64 v[20:21], v18 offset:8
	v_pk_mov_b32 v[18:19], v[14:15], v[14:15] op_sel:[0,1]
.LBB2_386:
	s_or_b64 exec, exec, s[14:15]
	v_add_u32_e32 v25, 1, v23
	v_cndmask_b32_e64 v26, v23, v25, s[24:25]
	v_add_u32_e32 v24, 1, v22
	v_cmp_ge_i32_e64 s[14:15], v26, v40
                                        ; implicit-def: $sgpr26_sgpr27
	s_and_saveexec_b64 s[16:17], s[14:15]
	s_xor_b64 s[14:15], exec, s[16:17]
; %bb.387:
	s_mov_b64 s[26:27], 0
; %bb.388:
	s_or_saveexec_b64 s[28:29], s[14:15]
	v_cndmask_b32_e64 v27, v24, v22, s[24:25]
	s_xor_b64 exec, exec, s[28:29]
	s_cbranch_execz .LBB2_394
; %bb.389:
	v_cmp_lt_i32_e64 s[14:15], v27, v39
	s_waitcnt lgkmcnt(0)
	v_cmp_nlt_f32_e64 s[16:17], v20, v18
	s_and_b64 s[30:31], s[14:15], s[16:17]
	s_mov_b64 s[14:15], -1
	s_and_saveexec_b64 s[16:17], s[30:31]
	s_cbranch_execz .LBB2_393
; %bb.390:
	v_cmp_eq_f32_e64 s[14:15], v20, v18
	s_mov_b64 s[30:31], 0
	s_and_saveexec_b64 s[34:35], s[14:15]
; %bb.391:
	v_cmp_lt_f32_e64 s[14:15], v21, v19
	s_and_b64 s[30:31], s[14:15], exec
; %bb.392:
	s_or_b64 exec, exec, s[34:35]
	s_orn2_b64 s[14:15], s[30:31], exec
.LBB2_393:
	s_or_b64 exec, exec, s[16:17]
	s_andn2_b64 s[16:17], s[26:27], exec
	s_and_b64 s[14:15], s[14:15], exec
	s_or_b64 s[26:27], s[16:17], s[14:15]
.LBB2_394:
	s_or_b64 exec, exec, s[28:29]
	s_xor_b64 s[14:15], s[26:27], -1
                                        ; implicit-def: $vgpr22_vgpr23
	s_and_saveexec_b64 s[16:17], s[14:15]
	s_xor_b64 s[14:15], exec, s[16:17]
	s_cbranch_execz .LBB2_396
; %bb.395:
	v_lshl_add_u32 v22, v27, 3, v37
	ds_read_b64 v[22:23], v22 offset:8
.LBB2_396:
	s_or_saveexec_b64 s[14:15], s[14:15]
	s_waitcnt lgkmcnt(0)
	v_pk_mov_b32 v[24:25], v[20:21], v[20:21] op_sel:[0,1]
	s_xor_b64 exec, exec, s[14:15]
	s_cbranch_execz .LBB2_398
; %bb.397:
	v_lshl_add_u32 v22, v26, 3, v37
	ds_read_b64 v[24:25], v22 offset:8
	v_pk_mov_b32 v[22:23], v[18:19], v[18:19] op_sel:[0,1]
.LBB2_398:
	s_or_b64 exec, exec, s[14:15]
	v_add_u32_e32 v28, 1, v26
	v_add_u32_e32 v29, 1, v27
	v_cndmask_b32_e64 v31, v26, v28, s[26:27]
	v_cndmask_b32_e64 v30, v29, v27, s[26:27]
	v_cmp_lt_i32_e64 s[14:15], v31, v40
	s_mov_b64 s[28:29], 0
	s_and_saveexec_b64 s[30:31], s[14:15]
	s_cbranch_execz .LBB2_404
; %bb.399:
	v_cmp_lt_i32_e64 s[14:15], v30, v39
	s_waitcnt lgkmcnt(0)
	v_cmp_nlt_f32_e64 s[16:17], v24, v22
	s_and_b64 s[28:29], s[14:15], s[16:17]
	s_mov_b64 s[14:15], -1
	s_and_saveexec_b64 s[16:17], s[28:29]
	s_cbranch_execz .LBB2_403
; %bb.400:
	v_cmp_eq_f32_e64 s[14:15], v24, v22
	s_mov_b64 s[28:29], 0
	s_and_saveexec_b64 s[34:35], s[14:15]
; %bb.401:
	v_cmp_lt_f32_e64 s[14:15], v25, v23
	s_and_b64 s[28:29], s[14:15], exec
; %bb.402:
	s_or_b64 exec, exec, s[34:35]
	s_orn2_b64 s[14:15], s[28:29], exec
.LBB2_403:
	s_or_b64 exec, exec, s[16:17]
	s_and_b64 s[28:29], s[14:15], exec
.LBB2_404:
	s_or_b64 exec, exec, s[30:31]
	s_xor_b64 s[14:15], s[28:29], -1
                                        ; implicit-def: $vgpr26_vgpr27
	s_and_saveexec_b64 s[16:17], s[14:15]
	s_xor_b64 s[14:15], exec, s[16:17]
	s_cbranch_execz .LBB2_406
; %bb.405:
	v_lshl_add_u32 v26, v30, 3, v37
	ds_read_b64 v[26:27], v26 offset:8
.LBB2_406:
	s_or_saveexec_b64 s[14:15], s[14:15]
	s_waitcnt lgkmcnt(0)
	v_pk_mov_b32 v[28:29], v[24:25], v[24:25] op_sel:[0,1]
	s_xor_b64 exec, exec, s[14:15]
	s_cbranch_execz .LBB2_408
; %bb.407:
	v_lshl_add_u32 v26, v31, 3, v37
	ds_read_b64 v[28:29], v26 offset:8
	v_pk_mov_b32 v[26:27], v[22:23], v[22:23] op_sel:[0,1]
.LBB2_408:
	s_or_b64 exec, exec, s[14:15]
	v_add_u32_e32 v33, 1, v31
	v_cndmask_b32_e64 v41, v31, v33, s[28:29]
	v_add_u32_e32 v32, 1, v30
	v_cmp_ge_i32_e64 s[14:15], v41, v40
                                        ; implicit-def: $sgpr30_sgpr31
	s_and_saveexec_b64 s[16:17], s[14:15]
	s_xor_b64 s[14:15], exec, s[16:17]
; %bb.409:
	s_mov_b64 s[30:31], 0
; %bb.410:
	s_or_saveexec_b64 s[34:35], s[14:15]
	v_cndmask_b32_e64 v42, v32, v30, s[28:29]
	s_xor_b64 exec, exec, s[34:35]
	s_cbranch_execz .LBB2_416
; %bb.411:
	v_cmp_lt_i32_e64 s[14:15], v42, v39
	s_waitcnt lgkmcnt(0)
	v_cmp_nlt_f32_e64 s[16:17], v28, v26
	s_and_b64 s[36:37], s[14:15], s[16:17]
	s_mov_b64 s[14:15], -1
	s_and_saveexec_b64 s[16:17], s[36:37]
	s_cbranch_execz .LBB2_415
; %bb.412:
	v_cmp_eq_f32_e64 s[14:15], v28, v26
	s_mov_b64 s[36:37], 0
	s_and_saveexec_b64 s[38:39], s[14:15]
; %bb.413:
	v_cmp_lt_f32_e64 s[14:15], v29, v27
	s_and_b64 s[36:37], s[14:15], exec
; %bb.414:
	s_or_b64 exec, exec, s[38:39]
	s_orn2_b64 s[14:15], s[36:37], exec
.LBB2_415:
	s_or_b64 exec, exec, s[16:17]
	s_andn2_b64 s[16:17], s[30:31], exec
	s_and_b64 s[14:15], s[14:15], exec
	s_or_b64 s[30:31], s[16:17], s[14:15]
.LBB2_416:
	s_or_b64 exec, exec, s[34:35]
	s_xor_b64 s[14:15], s[30:31], -1
                                        ; implicit-def: $vgpr30_vgpr31
	s_and_saveexec_b64 s[16:17], s[14:15]
	s_xor_b64 s[14:15], exec, s[16:17]
	s_cbranch_execz .LBB2_418
; %bb.417:
	v_lshl_add_u32 v30, v42, 3, v37
	ds_read_b64 v[30:31], v30 offset:8
.LBB2_418:
	s_or_saveexec_b64 s[14:15], s[14:15]
	s_waitcnt lgkmcnt(0)
	v_pk_mov_b32 v[32:33], v[28:29], v[28:29] op_sel:[0,1]
	s_xor_b64 exec, exec, s[14:15]
	s_cbranch_execz .LBB2_420
; %bb.419:
	v_lshl_add_u32 v30, v41, 3, v37
	ds_read_b64 v[32:33], v30 offset:8
	v_pk_mov_b32 v[30:31], v[26:27], v[26:27] op_sel:[0,1]
.LBB2_420:
	s_or_b64 exec, exec, s[14:15]
	v_add_u32_e32 v43, 1, v41
	v_cndmask_b32_e64 v41, v41, v43, s[30:31]
	v_cmp_lt_i32_e64 s[14:15], v41, v40
	s_mov_b64 s[16:17], 0
	s_and_saveexec_b64 s[34:35], s[14:15]
	s_cbranch_execz .LBB2_426
; %bb.421:
	v_add_u32_e32 v40, 1, v42
	v_cndmask_b32_e64 v40, v40, v42, s[30:31]
	v_cmp_lt_i32_e64 s[14:15], v40, v39
	s_waitcnt lgkmcnt(0)
	v_cmp_nlt_f32_e64 s[16:17], v32, v30
	s_and_b64 s[36:37], s[14:15], s[16:17]
	s_mov_b64 s[14:15], -1
	s_and_saveexec_b64 s[16:17], s[36:37]
	s_cbranch_execz .LBB2_425
; %bb.422:
	v_cmp_eq_f32_e64 s[14:15], v32, v30
	s_mov_b64 s[36:37], 0
	s_and_saveexec_b64 s[38:39], s[14:15]
; %bb.423:
	v_cmp_lt_f32_e64 s[14:15], v33, v31
	s_and_b64 s[36:37], s[14:15], exec
; %bb.424:
	s_or_b64 exec, exec, s[38:39]
	s_orn2_b64 s[14:15], s[36:37], exec
.LBB2_425:
	s_or_b64 exec, exec, s[16:17]
	s_and_b64 s[16:17], s[14:15], exec
.LBB2_426:
	s_or_b64 exec, exec, s[34:35]
	v_cndmask_b32_e64 v7, v7, v9, s[20:21]
	v_cndmask_b32_e64 v6, v6, v8, s[20:21]
	;; [unrolled: 1-line block ×14, first 2 shown]
	s_waitcnt lgkmcnt(0)
	v_cndmask_b32_e64 v5, v31, v33, s[16:17]
	v_cndmask_b32_e64 v4, v30, v32, s[16:17]
	; wave barrier
	ds_write2_b64 v38, v[2:3], v[6:7] offset1:1
	ds_write2_b64 v38, v[10:11], v[14:15] offset0:2 offset1:3
	ds_write2_b64 v38, v[18:19], v[22:23] offset0:4 offset1:5
	;; [unrolled: 1-line block ×3, first 2 shown]
	v_and_b32_e32 v3, 0x80, v36
	v_min_i32_e32 v6, v34, v3
	v_add_u32_e32 v3, 64, v6
	v_and_b32_e32 v2, 0x78, v36
	v_min_i32_e32 v36, v34, v3
	v_add_u32_e32 v3, 64, v36
	v_min_i32_e32 v39, v34, v3
	v_min_i32_e32 v2, v34, v2
	v_sub_u32_e32 v5, v39, v36
	v_sub_u32_e32 v4, v36, v6
	;; [unrolled: 1-line block ×3, first 2 shown]
	v_cmp_ge_i32_e64 s[14:15], v2, v5
	v_cndmask_b32_e64 v7, 0, v7, s[14:15]
	v_min_i32_e32 v4, v2, v4
	v_lshl_add_u32 v3, v6, 3, v37
	v_cmp_lt_i32_e64 s[14:15], v7, v4
	; wave barrier
	s_and_saveexec_b64 s[16:17], s[14:15]
	s_cbranch_execz .LBB2_434
; %bb.427:
	v_lshlrev_b32_e32 v5, 3, v36
	v_lshlrev_b32_e32 v8, 3, v2
	v_add3_u32 v5, v37, v5, v8
	s_mov_b64 s[18:19], 0
                                        ; implicit-def: $sgpr20_sgpr21
	s_branch .LBB2_430
.LBB2_428:                              ;   in Loop: Header=BB2_430 Depth=1
	s_or_b64 exec, exec, s[26:27]
	s_andn2_b64 s[14:15], s[20:21], exec
	s_and_b64 s[20:21], s[24:25], exec
	s_or_b64 s[20:21], s[14:15], s[20:21]
.LBB2_429:                              ;   in Loop: Header=BB2_430 Depth=1
	s_or_b64 exec, exec, s[22:23]
	v_add_u32_e32 v9, 1, v8
	v_cndmask_b32_e64 v4, v4, v8, s[20:21]
	v_cndmask_b32_e64 v7, v9, v7, s[20:21]
	v_cmp_ge_i32_e64 s[14:15], v7, v4
	s_or_b64 s[18:19], s[14:15], s[18:19]
	s_andn2_b64 exec, exec, s[18:19]
	s_cbranch_execz .LBB2_433
.LBB2_430:                              ; =>This Inner Loop Header: Depth=1
	v_sub_u32_e32 v8, v4, v7
	v_lshrrev_b32_e32 v9, 31, v8
	v_add_u32_e32 v8, v8, v9
	v_ashrrev_i32_e32 v8, 1, v8
	v_add_u32_e32 v8, v8, v7
	v_lshl_add_u32 v9, v8, 3, v3
	v_not_b32_e32 v10, v8
	v_lshl_add_u32 v10, v10, 3, v5
	ds_read_b32 v11, v9
	ds_read_b32 v12, v10
	s_or_b64 s[20:21], s[20:21], exec
	s_waitcnt lgkmcnt(0)
	v_cmp_nlt_f32_e64 s[14:15], v12, v11
	s_and_saveexec_b64 s[22:23], s[14:15]
	s_cbranch_execz .LBB2_429
; %bb.431:                              ;   in Loop: Header=BB2_430 Depth=1
	v_cmp_eq_f32_e64 s[14:15], v12, v11
	s_mov_b64 s[24:25], 0
	s_and_saveexec_b64 s[26:27], s[14:15]
	s_cbranch_execz .LBB2_428
; %bb.432:                              ;   in Loop: Header=BB2_430 Depth=1
	ds_read_b32 v10, v10 offset:4
	ds_read_b32 v9, v9 offset:4
	s_waitcnt lgkmcnt(0)
	v_cmp_lt_f32_e64 s[14:15], v10, v9
	s_and_b64 s[24:25], s[14:15], exec
	s_branch .LBB2_428
.LBB2_433:
	s_or_b64 exec, exec, s[18:19]
.LBB2_434:
	s_or_b64 exec, exec, s[16:17]
	v_add_u32_e32 v2, v36, v2
	v_sub_u32_e32 v10, v2, v7
	v_lshl_add_u32 v8, v7, 3, v3
	v_lshl_add_u32 v11, v10, 3, v37
	ds_read_b64 v[2:3], v8
	ds_read_b64 v[4:5], v11
	v_cmp_le_i32_e64 s[14:15], v39, v10
                                        ; implicit-def: $sgpr18_sgpr19
	s_and_saveexec_b64 s[16:17], s[14:15]
	s_xor_b64 s[14:15], exec, s[16:17]
; %bb.435:
	s_mov_b64 s[18:19], 0
; %bb.436:
	s_or_saveexec_b64 s[20:21], s[14:15]
	v_add_u32_e32 v12, v7, v6
	s_xor_b64 exec, exec, s[20:21]
	s_cbranch_execz .LBB2_442
; %bb.437:
	v_cmp_gt_i32_e64 s[14:15], v36, v12
	s_waitcnt lgkmcnt(0)
	v_cmp_nlt_f32_e64 s[16:17], v4, v2
	s_and_b64 s[22:23], s[14:15], s[16:17]
	s_mov_b64 s[14:15], -1
	s_and_saveexec_b64 s[16:17], s[22:23]
	s_cbranch_execz .LBB2_441
; %bb.438:
	v_cmp_eq_f32_e64 s[14:15], v4, v2
	s_mov_b64 s[22:23], 0
	s_and_saveexec_b64 s[24:25], s[14:15]
; %bb.439:
	v_cmp_lt_f32_e64 s[14:15], v5, v3
	s_and_b64 s[22:23], s[14:15], exec
; %bb.440:
	s_or_b64 exec, exec, s[24:25]
	s_orn2_b64 s[14:15], s[22:23], exec
.LBB2_441:
	s_or_b64 exec, exec, s[16:17]
	s_andn2_b64 s[16:17], s[18:19], exec
	s_and_b64 s[14:15], s[14:15], exec
	s_or_b64 s[18:19], s[16:17], s[14:15]
.LBB2_442:
	s_or_b64 exec, exec, s[20:21]
	s_xor_b64 s[14:15], s[18:19], -1
                                        ; implicit-def: $vgpr6_vgpr7
	s_and_saveexec_b64 s[16:17], s[14:15]
	s_xor_b64 s[14:15], exec, s[16:17]
	s_cbranch_execz .LBB2_444
; %bb.443:
	ds_read_b64 v[6:7], v8 offset:8
                                        ; implicit-def: $vgpr11
.LBB2_444:
	s_or_saveexec_b64 s[14:15], s[14:15]
	s_waitcnt lgkmcnt(0)
	v_pk_mov_b32 v[8:9], v[4:5], v[4:5] op_sel:[0,1]
	s_xor_b64 exec, exec, s[14:15]
	s_cbranch_execz .LBB2_446
; %bb.445:
	ds_read_b64 v[8:9], v11 offset:8
	v_pk_mov_b32 v[6:7], v[2:3], v[2:3] op_sel:[0,1]
.LBB2_446:
	s_or_b64 exec, exec, s[14:15]
	v_add_u32_e32 v11, 1, v10
	v_add_u32_e32 v13, 1, v12
	v_cndmask_b32_e64 v15, v10, v11, s[18:19]
	v_cndmask_b32_e64 v14, v13, v12, s[18:19]
	v_cmp_lt_i32_e64 s[14:15], v15, v39
	s_mov_b64 s[20:21], 0
	s_and_saveexec_b64 s[22:23], s[14:15]
	s_cbranch_execz .LBB2_452
; %bb.447:
	v_cmp_lt_i32_e64 s[14:15], v14, v36
	s_waitcnt lgkmcnt(0)
	v_cmp_nlt_f32_e64 s[16:17], v8, v6
	s_and_b64 s[20:21], s[14:15], s[16:17]
	s_mov_b64 s[14:15], -1
	s_and_saveexec_b64 s[16:17], s[20:21]
	s_cbranch_execz .LBB2_451
; %bb.448:
	v_cmp_eq_f32_e64 s[14:15], v8, v6
	s_mov_b64 s[20:21], 0
	s_and_saveexec_b64 s[24:25], s[14:15]
; %bb.449:
	v_cmp_lt_f32_e64 s[14:15], v9, v7
	s_and_b64 s[20:21], s[14:15], exec
; %bb.450:
	s_or_b64 exec, exec, s[24:25]
	s_orn2_b64 s[14:15], s[20:21], exec
.LBB2_451:
	s_or_b64 exec, exec, s[16:17]
	s_and_b64 s[20:21], s[14:15], exec
.LBB2_452:
	s_or_b64 exec, exec, s[22:23]
	s_xor_b64 s[14:15], s[20:21], -1
                                        ; implicit-def: $vgpr10_vgpr11
	s_and_saveexec_b64 s[16:17], s[14:15]
	s_xor_b64 s[14:15], exec, s[16:17]
	s_cbranch_execz .LBB2_454
; %bb.453:
	v_lshl_add_u32 v10, v14, 3, v37
	ds_read_b64 v[10:11], v10 offset:8
.LBB2_454:
	s_or_saveexec_b64 s[14:15], s[14:15]
	s_waitcnt lgkmcnt(0)
	v_pk_mov_b32 v[12:13], v[8:9], v[8:9] op_sel:[0,1]
	s_xor_b64 exec, exec, s[14:15]
	s_cbranch_execz .LBB2_456
; %bb.455:
	v_lshl_add_u32 v10, v15, 3, v37
	ds_read_b64 v[12:13], v10 offset:8
	v_pk_mov_b32 v[10:11], v[6:7], v[6:7] op_sel:[0,1]
.LBB2_456:
	s_or_b64 exec, exec, s[14:15]
	v_add_u32_e32 v17, 1, v15
	v_cndmask_b32_e64 v18, v15, v17, s[20:21]
	v_add_u32_e32 v16, 1, v14
	v_cmp_ge_i32_e64 s[14:15], v18, v39
                                        ; implicit-def: $sgpr22_sgpr23
	s_and_saveexec_b64 s[16:17], s[14:15]
	s_xor_b64 s[14:15], exec, s[16:17]
; %bb.457:
	s_mov_b64 s[22:23], 0
; %bb.458:
	s_or_saveexec_b64 s[24:25], s[14:15]
	v_cndmask_b32_e64 v19, v16, v14, s[20:21]
	s_xor_b64 exec, exec, s[24:25]
	s_cbranch_execz .LBB2_464
; %bb.459:
	v_cmp_lt_i32_e64 s[14:15], v19, v36
	s_waitcnt lgkmcnt(0)
	v_cmp_nlt_f32_e64 s[16:17], v12, v10
	s_and_b64 s[26:27], s[14:15], s[16:17]
	s_mov_b64 s[14:15], -1
	s_and_saveexec_b64 s[16:17], s[26:27]
	s_cbranch_execz .LBB2_463
; %bb.460:
	v_cmp_eq_f32_e64 s[14:15], v12, v10
	s_mov_b64 s[26:27], 0
	s_and_saveexec_b64 s[28:29], s[14:15]
; %bb.461:
	v_cmp_lt_f32_e64 s[14:15], v13, v11
	s_and_b64 s[26:27], s[14:15], exec
; %bb.462:
	s_or_b64 exec, exec, s[28:29]
	s_orn2_b64 s[14:15], s[26:27], exec
.LBB2_463:
	s_or_b64 exec, exec, s[16:17]
	s_andn2_b64 s[16:17], s[22:23], exec
	s_and_b64 s[14:15], s[14:15], exec
	s_or_b64 s[22:23], s[16:17], s[14:15]
.LBB2_464:
	s_or_b64 exec, exec, s[24:25]
	s_xor_b64 s[14:15], s[22:23], -1
                                        ; implicit-def: $vgpr14_vgpr15
	s_and_saveexec_b64 s[16:17], s[14:15]
	s_xor_b64 s[14:15], exec, s[16:17]
	s_cbranch_execz .LBB2_466
; %bb.465:
	v_lshl_add_u32 v14, v19, 3, v37
	ds_read_b64 v[14:15], v14 offset:8
.LBB2_466:
	s_or_saveexec_b64 s[14:15], s[14:15]
	s_waitcnt lgkmcnt(0)
	v_pk_mov_b32 v[16:17], v[12:13], v[12:13] op_sel:[0,1]
	s_xor_b64 exec, exec, s[14:15]
	s_cbranch_execz .LBB2_468
; %bb.467:
	v_lshl_add_u32 v14, v18, 3, v37
	ds_read_b64 v[16:17], v14 offset:8
	v_pk_mov_b32 v[14:15], v[10:11], v[10:11] op_sel:[0,1]
.LBB2_468:
	s_or_b64 exec, exec, s[14:15]
	v_add_u32_e32 v20, 1, v18
	v_add_u32_e32 v21, 1, v19
	v_cndmask_b32_e64 v23, v18, v20, s[22:23]
	v_cndmask_b32_e64 v22, v21, v19, s[22:23]
	v_cmp_lt_i32_e64 s[14:15], v23, v39
	s_mov_b64 s[24:25], 0
	s_and_saveexec_b64 s[26:27], s[14:15]
	s_cbranch_execz .LBB2_474
; %bb.469:
	v_cmp_lt_i32_e64 s[14:15], v22, v36
	s_waitcnt lgkmcnt(0)
	v_cmp_nlt_f32_e64 s[16:17], v16, v14
	s_and_b64 s[24:25], s[14:15], s[16:17]
	s_mov_b64 s[14:15], -1
	s_and_saveexec_b64 s[16:17], s[24:25]
	s_cbranch_execz .LBB2_473
; %bb.470:
	v_cmp_eq_f32_e64 s[14:15], v16, v14
	s_mov_b64 s[24:25], 0
	s_and_saveexec_b64 s[28:29], s[14:15]
; %bb.471:
	v_cmp_lt_f32_e64 s[14:15], v17, v15
	s_and_b64 s[24:25], s[14:15], exec
; %bb.472:
	s_or_b64 exec, exec, s[28:29]
	s_orn2_b64 s[14:15], s[24:25], exec
.LBB2_473:
	s_or_b64 exec, exec, s[16:17]
	s_and_b64 s[24:25], s[14:15], exec
.LBB2_474:
	s_or_b64 exec, exec, s[26:27]
	s_xor_b64 s[14:15], s[24:25], -1
                                        ; implicit-def: $vgpr18_vgpr19
	s_and_saveexec_b64 s[16:17], s[14:15]
	s_xor_b64 s[14:15], exec, s[16:17]
	s_cbranch_execz .LBB2_476
; %bb.475:
	v_lshl_add_u32 v18, v22, 3, v37
	ds_read_b64 v[18:19], v18 offset:8
.LBB2_476:
	s_or_saveexec_b64 s[14:15], s[14:15]
	s_waitcnt lgkmcnt(0)
	v_pk_mov_b32 v[20:21], v[16:17], v[16:17] op_sel:[0,1]
	s_xor_b64 exec, exec, s[14:15]
	s_cbranch_execz .LBB2_478
; %bb.477:
	v_lshl_add_u32 v18, v23, 3, v37
	ds_read_b64 v[20:21], v18 offset:8
	v_pk_mov_b32 v[18:19], v[14:15], v[14:15] op_sel:[0,1]
.LBB2_478:
	s_or_b64 exec, exec, s[14:15]
	v_add_u32_e32 v25, 1, v23
	v_cndmask_b32_e64 v26, v23, v25, s[24:25]
	v_add_u32_e32 v24, 1, v22
	v_cmp_ge_i32_e64 s[14:15], v26, v39
                                        ; implicit-def: $sgpr26_sgpr27
	s_and_saveexec_b64 s[16:17], s[14:15]
	s_xor_b64 s[14:15], exec, s[16:17]
; %bb.479:
	s_mov_b64 s[26:27], 0
; %bb.480:
	s_or_saveexec_b64 s[28:29], s[14:15]
	v_cndmask_b32_e64 v27, v24, v22, s[24:25]
	s_xor_b64 exec, exec, s[28:29]
	s_cbranch_execz .LBB2_486
; %bb.481:
	v_cmp_lt_i32_e64 s[14:15], v27, v36
	s_waitcnt lgkmcnt(0)
	v_cmp_nlt_f32_e64 s[16:17], v20, v18
	s_and_b64 s[30:31], s[14:15], s[16:17]
	s_mov_b64 s[14:15], -1
	s_and_saveexec_b64 s[16:17], s[30:31]
	s_cbranch_execz .LBB2_485
; %bb.482:
	v_cmp_eq_f32_e64 s[14:15], v20, v18
	s_mov_b64 s[30:31], 0
	s_and_saveexec_b64 s[34:35], s[14:15]
; %bb.483:
	v_cmp_lt_f32_e64 s[14:15], v21, v19
	s_and_b64 s[30:31], s[14:15], exec
; %bb.484:
	s_or_b64 exec, exec, s[34:35]
	s_orn2_b64 s[14:15], s[30:31], exec
.LBB2_485:
	s_or_b64 exec, exec, s[16:17]
	s_andn2_b64 s[16:17], s[26:27], exec
	s_and_b64 s[14:15], s[14:15], exec
	s_or_b64 s[26:27], s[16:17], s[14:15]
.LBB2_486:
	s_or_b64 exec, exec, s[28:29]
	s_xor_b64 s[14:15], s[26:27], -1
                                        ; implicit-def: $vgpr22_vgpr23
	s_and_saveexec_b64 s[16:17], s[14:15]
	s_xor_b64 s[14:15], exec, s[16:17]
	s_cbranch_execz .LBB2_488
; %bb.487:
	v_lshl_add_u32 v22, v27, 3, v37
	ds_read_b64 v[22:23], v22 offset:8
.LBB2_488:
	s_or_saveexec_b64 s[14:15], s[14:15]
	s_waitcnt lgkmcnt(0)
	v_pk_mov_b32 v[24:25], v[20:21], v[20:21] op_sel:[0,1]
	s_xor_b64 exec, exec, s[14:15]
	s_cbranch_execz .LBB2_490
; %bb.489:
	v_lshl_add_u32 v22, v26, 3, v37
	ds_read_b64 v[24:25], v22 offset:8
	v_pk_mov_b32 v[22:23], v[18:19], v[18:19] op_sel:[0,1]
.LBB2_490:
	s_or_b64 exec, exec, s[14:15]
	v_add_u32_e32 v28, 1, v26
	v_add_u32_e32 v29, 1, v27
	v_cndmask_b32_e64 v31, v26, v28, s[26:27]
	v_cndmask_b32_e64 v30, v29, v27, s[26:27]
	v_cmp_lt_i32_e64 s[14:15], v31, v39
	s_mov_b64 s[28:29], 0
	s_and_saveexec_b64 s[30:31], s[14:15]
	s_cbranch_execz .LBB2_496
; %bb.491:
	v_cmp_lt_i32_e64 s[14:15], v30, v36
	s_waitcnt lgkmcnt(0)
	v_cmp_nlt_f32_e64 s[16:17], v24, v22
	s_and_b64 s[28:29], s[14:15], s[16:17]
	s_mov_b64 s[14:15], -1
	s_and_saveexec_b64 s[16:17], s[28:29]
	s_cbranch_execz .LBB2_495
; %bb.492:
	v_cmp_eq_f32_e64 s[14:15], v24, v22
	s_mov_b64 s[28:29], 0
	s_and_saveexec_b64 s[34:35], s[14:15]
; %bb.493:
	v_cmp_lt_f32_e64 s[14:15], v25, v23
	s_and_b64 s[28:29], s[14:15], exec
; %bb.494:
	s_or_b64 exec, exec, s[34:35]
	s_orn2_b64 s[14:15], s[28:29], exec
.LBB2_495:
	s_or_b64 exec, exec, s[16:17]
	s_and_b64 s[28:29], s[14:15], exec
.LBB2_496:
	s_or_b64 exec, exec, s[30:31]
	s_xor_b64 s[14:15], s[28:29], -1
                                        ; implicit-def: $vgpr26_vgpr27
	s_and_saveexec_b64 s[16:17], s[14:15]
	s_xor_b64 s[14:15], exec, s[16:17]
	s_cbranch_execz .LBB2_498
; %bb.497:
	v_lshl_add_u32 v26, v30, 3, v37
	ds_read_b64 v[26:27], v26 offset:8
.LBB2_498:
	s_or_saveexec_b64 s[14:15], s[14:15]
	s_waitcnt lgkmcnt(0)
	v_pk_mov_b32 v[28:29], v[24:25], v[24:25] op_sel:[0,1]
	s_xor_b64 exec, exec, s[14:15]
	s_cbranch_execz .LBB2_500
; %bb.499:
	v_lshl_add_u32 v26, v31, 3, v37
	ds_read_b64 v[28:29], v26 offset:8
	v_pk_mov_b32 v[26:27], v[22:23], v[22:23] op_sel:[0,1]
.LBB2_500:
	s_or_b64 exec, exec, s[14:15]
	v_add_u32_e32 v33, 1, v31
	v_cndmask_b32_e64 v40, v31, v33, s[28:29]
	v_add_u32_e32 v32, 1, v30
	v_cmp_ge_i32_e64 s[14:15], v40, v39
                                        ; implicit-def: $sgpr30_sgpr31
	s_and_saveexec_b64 s[16:17], s[14:15]
	s_xor_b64 s[14:15], exec, s[16:17]
; %bb.501:
	s_mov_b64 s[30:31], 0
; %bb.502:
	s_or_saveexec_b64 s[34:35], s[14:15]
	v_cndmask_b32_e64 v41, v32, v30, s[28:29]
	s_xor_b64 exec, exec, s[34:35]
	s_cbranch_execz .LBB2_508
; %bb.503:
	v_cmp_lt_i32_e64 s[14:15], v41, v36
	s_waitcnt lgkmcnt(0)
	v_cmp_nlt_f32_e64 s[16:17], v28, v26
	s_and_b64 s[36:37], s[14:15], s[16:17]
	s_mov_b64 s[14:15], -1
	s_and_saveexec_b64 s[16:17], s[36:37]
	s_cbranch_execz .LBB2_507
; %bb.504:
	v_cmp_eq_f32_e64 s[14:15], v28, v26
	s_mov_b64 s[36:37], 0
	s_and_saveexec_b64 s[38:39], s[14:15]
; %bb.505:
	v_cmp_lt_f32_e64 s[14:15], v29, v27
	s_and_b64 s[36:37], s[14:15], exec
; %bb.506:
	s_or_b64 exec, exec, s[38:39]
	s_orn2_b64 s[14:15], s[36:37], exec
.LBB2_507:
	s_or_b64 exec, exec, s[16:17]
	s_andn2_b64 s[16:17], s[30:31], exec
	s_and_b64 s[14:15], s[14:15], exec
	s_or_b64 s[30:31], s[16:17], s[14:15]
.LBB2_508:
	s_or_b64 exec, exec, s[34:35]
	s_xor_b64 s[14:15], s[30:31], -1
                                        ; implicit-def: $vgpr30_vgpr31
	s_and_saveexec_b64 s[16:17], s[14:15]
	s_xor_b64 s[14:15], exec, s[16:17]
	s_cbranch_execz .LBB2_510
; %bb.509:
	v_lshl_add_u32 v30, v41, 3, v37
	ds_read_b64 v[30:31], v30 offset:8
.LBB2_510:
	s_or_saveexec_b64 s[14:15], s[14:15]
	s_waitcnt lgkmcnt(0)
	v_pk_mov_b32 v[32:33], v[28:29], v[28:29] op_sel:[0,1]
	s_xor_b64 exec, exec, s[14:15]
	s_cbranch_execz .LBB2_512
; %bb.511:
	v_lshl_add_u32 v30, v40, 3, v37
	ds_read_b64 v[32:33], v30 offset:8
	v_pk_mov_b32 v[30:31], v[26:27], v[26:27] op_sel:[0,1]
.LBB2_512:
	s_or_b64 exec, exec, s[14:15]
	v_add_u32_e32 v42, 1, v40
	v_cndmask_b32_e64 v40, v40, v42, s[30:31]
	v_cmp_lt_i32_e64 s[14:15], v40, v39
	s_mov_b64 s[16:17], 0
	s_and_saveexec_b64 s[34:35], s[14:15]
	s_cbranch_execz .LBB2_518
; %bb.513:
	v_add_u32_e32 v39, 1, v41
	v_cndmask_b32_e64 v39, v39, v41, s[30:31]
	v_cmp_lt_i32_e64 s[14:15], v39, v36
	s_waitcnt lgkmcnt(0)
	v_cmp_nlt_f32_e64 s[16:17], v32, v30
	s_and_b64 s[36:37], s[14:15], s[16:17]
	s_mov_b64 s[14:15], -1
	s_and_saveexec_b64 s[16:17], s[36:37]
	s_cbranch_execz .LBB2_517
; %bb.514:
	v_cmp_eq_f32_e64 s[14:15], v32, v30
	s_mov_b64 s[36:37], 0
	s_and_saveexec_b64 s[38:39], s[14:15]
; %bb.515:
	v_cmp_lt_f32_e64 s[14:15], v33, v31
	s_and_b64 s[36:37], s[14:15], exec
; %bb.516:
	s_or_b64 exec, exec, s[38:39]
	s_orn2_b64 s[14:15], s[36:37], exec
.LBB2_517:
	s_or_b64 exec, exec, s[16:17]
	s_and_b64 s[16:17], s[14:15], exec
.LBB2_518:
	s_or_b64 exec, exec, s[34:35]
	v_cndmask_b32_e64 v7, v7, v9, s[20:21]
	v_cndmask_b32_e64 v6, v6, v8, s[20:21]
	;; [unrolled: 1-line block ×14, first 2 shown]
	s_waitcnt lgkmcnt(0)
	v_cndmask_b32_e64 v5, v31, v33, s[16:17]
	v_cndmask_b32_e64 v4, v30, v32, s[16:17]
	; wave barrier
	ds_write2_b64 v38, v[2:3], v[6:7] offset1:1
	ds_write2_b64 v38, v[10:11], v[14:15] offset0:2 offset1:3
	ds_write2_b64 v38, v[18:19], v[22:23] offset0:4 offset1:5
	;; [unrolled: 1-line block ×3, first 2 shown]
	v_min_i32_e32 v6, 0, v34
	v_add_u32_e32 v3, 0x80, v6
	v_min_i32_e32 v2, v34, v35
	v_min_i32_e32 v35, v34, v3
	v_add_u32_e32 v3, 0x80, v35
	v_min_i32_e32 v34, v34, v3
	v_sub_u32_e32 v5, v34, v35
	v_sub_u32_e32 v4, v35, v6
	;; [unrolled: 1-line block ×3, first 2 shown]
	v_cmp_ge_i32_e64 s[14:15], v2, v5
	v_cndmask_b32_e64 v7, 0, v7, s[14:15]
	v_min_i32_e32 v4, v2, v4
	v_lshl_add_u32 v3, v6, 3, v37
	v_cmp_lt_i32_e64 s[14:15], v7, v4
	; wave barrier
	s_and_saveexec_b64 s[16:17], s[14:15]
	s_cbranch_execz .LBB2_526
; %bb.519:
	v_lshlrev_b32_e32 v5, 3, v35
	v_lshlrev_b32_e32 v8, 3, v2
	v_add3_u32 v5, v37, v5, v8
	s_mov_b64 s[18:19], 0
                                        ; implicit-def: $sgpr20_sgpr21
	s_branch .LBB2_522
.LBB2_520:                              ;   in Loop: Header=BB2_522 Depth=1
	s_or_b64 exec, exec, s[26:27]
	s_andn2_b64 s[14:15], s[20:21], exec
	s_and_b64 s[20:21], s[24:25], exec
	s_or_b64 s[20:21], s[14:15], s[20:21]
.LBB2_521:                              ;   in Loop: Header=BB2_522 Depth=1
	s_or_b64 exec, exec, s[22:23]
	v_add_u32_e32 v9, 1, v8
	v_cndmask_b32_e64 v4, v4, v8, s[20:21]
	v_cndmask_b32_e64 v7, v9, v7, s[20:21]
	v_cmp_ge_i32_e64 s[14:15], v7, v4
	s_or_b64 s[18:19], s[14:15], s[18:19]
	s_andn2_b64 exec, exec, s[18:19]
	s_cbranch_execz .LBB2_525
.LBB2_522:                              ; =>This Inner Loop Header: Depth=1
	v_sub_u32_e32 v8, v4, v7
	v_lshrrev_b32_e32 v9, 31, v8
	v_add_u32_e32 v8, v8, v9
	v_ashrrev_i32_e32 v8, 1, v8
	v_add_u32_e32 v8, v8, v7
	v_lshl_add_u32 v9, v8, 3, v3
	v_not_b32_e32 v10, v8
	v_lshl_add_u32 v10, v10, 3, v5
	ds_read_b32 v11, v9
	ds_read_b32 v12, v10
	s_or_b64 s[20:21], s[20:21], exec
	s_waitcnt lgkmcnt(0)
	v_cmp_nlt_f32_e64 s[14:15], v12, v11
	s_and_saveexec_b64 s[22:23], s[14:15]
	s_cbranch_execz .LBB2_521
; %bb.523:                              ;   in Loop: Header=BB2_522 Depth=1
	v_cmp_eq_f32_e64 s[14:15], v12, v11
	s_mov_b64 s[24:25], 0
	s_and_saveexec_b64 s[26:27], s[14:15]
	s_cbranch_execz .LBB2_520
; %bb.524:                              ;   in Loop: Header=BB2_522 Depth=1
	ds_read_b32 v10, v10 offset:4
	ds_read_b32 v9, v9 offset:4
	s_waitcnt lgkmcnt(0)
	v_cmp_lt_f32_e64 s[14:15], v10, v9
	s_and_b64 s[24:25], s[14:15], exec
	s_branch .LBB2_520
.LBB2_525:
	s_or_b64 exec, exec, s[18:19]
.LBB2_526:
	s_or_b64 exec, exec, s[16:17]
	v_add_u32_e32 v2, v2, v35
	v_sub_u32_e32 v10, v2, v7
	v_lshl_add_u32 v8, v7, 3, v3
	v_lshl_add_u32 v12, v10, 3, v37
	ds_read_b64 v[2:3], v8
	ds_read_b64 v[4:5], v12
	v_cmp_le_i32_e64 s[14:15], v34, v10
                                        ; implicit-def: $sgpr18_sgpr19
	s_and_saveexec_b64 s[16:17], s[14:15]
	s_xor_b64 s[14:15], exec, s[16:17]
; %bb.527:
	s_mov_b64 s[18:19], 0
; %bb.528:
	s_or_saveexec_b64 s[20:21], s[14:15]
	v_add_u32_e32 v11, v7, v6
	s_xor_b64 exec, exec, s[20:21]
	s_cbranch_execz .LBB2_534
; %bb.529:
	v_cmp_gt_i32_e64 s[14:15], v35, v11
	s_waitcnt lgkmcnt(0)
	v_cmp_nlt_f32_e64 s[16:17], v4, v2
	s_and_b64 s[22:23], s[14:15], s[16:17]
	s_mov_b64 s[14:15], -1
	s_and_saveexec_b64 s[16:17], s[22:23]
	s_cbranch_execz .LBB2_533
; %bb.530:
	v_cmp_eq_f32_e64 s[14:15], v4, v2
	s_mov_b64 s[22:23], 0
	s_and_saveexec_b64 s[24:25], s[14:15]
; %bb.531:
	v_cmp_lt_f32_e64 s[14:15], v5, v3
	s_and_b64 s[22:23], s[14:15], exec
; %bb.532:
	s_or_b64 exec, exec, s[24:25]
	s_orn2_b64 s[14:15], s[22:23], exec
.LBB2_533:
	s_or_b64 exec, exec, s[16:17]
	s_andn2_b64 s[16:17], s[18:19], exec
	s_and_b64 s[14:15], s[14:15], exec
	s_or_b64 s[18:19], s[16:17], s[14:15]
.LBB2_534:
	s_or_b64 exec, exec, s[20:21]
	s_xor_b64 s[14:15], s[18:19], -1
                                        ; implicit-def: $vgpr6_vgpr7
	s_and_saveexec_b64 s[16:17], s[14:15]
	s_xor_b64 s[14:15], exec, s[16:17]
	s_cbranch_execz .LBB2_536
; %bb.535:
	ds_read_b64 v[6:7], v8 offset:8
                                        ; implicit-def: $vgpr12
.LBB2_536:
	s_or_saveexec_b64 s[14:15], s[14:15]
	s_waitcnt lgkmcnt(0)
	v_pk_mov_b32 v[8:9], v[4:5], v[4:5] op_sel:[0,1]
	s_xor_b64 exec, exec, s[14:15]
	s_cbranch_execz .LBB2_538
; %bb.537:
	ds_read_b64 v[8:9], v12 offset:8
	v_pk_mov_b32 v[6:7], v[2:3], v[2:3] op_sel:[0,1]
.LBB2_538:
	s_or_b64 exec, exec, s[14:15]
	v_add_u32_e32 v13, 1, v10
	v_cndmask_b32_e64 v14, v10, v13, s[18:19]
	v_add_u32_e32 v12, 1, v11
	v_cmp_ge_i32_e64 s[14:15], v14, v34
                                        ; implicit-def: $sgpr20_sgpr21
	s_and_saveexec_b64 s[16:17], s[14:15]
	s_xor_b64 s[14:15], exec, s[16:17]
; %bb.539:
	s_mov_b64 s[20:21], 0
; %bb.540:
	s_or_saveexec_b64 s[22:23], s[14:15]
	v_cndmask_b32_e64 v15, v12, v11, s[18:19]
	s_xor_b64 exec, exec, s[22:23]
	s_cbranch_execz .LBB2_546
; %bb.541:
	v_cmp_lt_i32_e64 s[14:15], v15, v35
	s_waitcnt lgkmcnt(0)
	v_cmp_nlt_f32_e64 s[16:17], v8, v6
	s_and_b64 s[24:25], s[14:15], s[16:17]
	s_mov_b64 s[14:15], -1
	s_and_saveexec_b64 s[16:17], s[24:25]
	s_cbranch_execz .LBB2_545
; %bb.542:
	v_cmp_eq_f32_e64 s[14:15], v8, v6
	s_mov_b64 s[24:25], 0
	s_and_saveexec_b64 s[26:27], s[14:15]
; %bb.543:
	v_cmp_lt_f32_e64 s[14:15], v9, v7
	s_and_b64 s[24:25], s[14:15], exec
; %bb.544:
	s_or_b64 exec, exec, s[26:27]
	s_orn2_b64 s[14:15], s[24:25], exec
.LBB2_545:
	s_or_b64 exec, exec, s[16:17]
	s_andn2_b64 s[16:17], s[20:21], exec
	s_and_b64 s[14:15], s[14:15], exec
	s_or_b64 s[20:21], s[16:17], s[14:15]
.LBB2_546:
	s_or_b64 exec, exec, s[22:23]
	s_xor_b64 s[14:15], s[20:21], -1
                                        ; implicit-def: $vgpr10_vgpr11
	s_and_saveexec_b64 s[16:17], s[14:15]
	s_xor_b64 s[14:15], exec, s[16:17]
	s_cbranch_execz .LBB2_548
; %bb.547:
	v_lshl_add_u32 v10, v15, 3, v37
	ds_read_b64 v[10:11], v10 offset:8
.LBB2_548:
	s_or_saveexec_b64 s[14:15], s[14:15]
	s_waitcnt lgkmcnt(0)
	v_pk_mov_b32 v[12:13], v[8:9], v[8:9] op_sel:[0,1]
	s_xor_b64 exec, exec, s[14:15]
	s_cbranch_execz .LBB2_550
; %bb.549:
	v_lshl_add_u32 v10, v14, 3, v37
	ds_read_b64 v[12:13], v10 offset:8
	v_pk_mov_b32 v[10:11], v[6:7], v[6:7] op_sel:[0,1]
.LBB2_550:
	s_or_b64 exec, exec, s[14:15]
	v_add_u32_e32 v17, 1, v14
	v_cndmask_b32_e64 v18, v14, v17, s[20:21]
	v_add_u32_e32 v16, 1, v15
	v_cmp_ge_i32_e64 s[14:15], v18, v34
                                        ; implicit-def: $sgpr22_sgpr23
	s_and_saveexec_b64 s[16:17], s[14:15]
	s_xor_b64 s[14:15], exec, s[16:17]
; %bb.551:
	s_mov_b64 s[22:23], 0
; %bb.552:
	s_or_saveexec_b64 s[24:25], s[14:15]
	v_cndmask_b32_e64 v19, v16, v15, s[20:21]
	s_xor_b64 exec, exec, s[24:25]
	s_cbranch_execz .LBB2_558
; %bb.553:
	v_cmp_lt_i32_e64 s[14:15], v19, v35
	s_waitcnt lgkmcnt(0)
	v_cmp_nlt_f32_e64 s[16:17], v12, v10
	s_and_b64 s[26:27], s[14:15], s[16:17]
	s_mov_b64 s[14:15], -1
	s_and_saveexec_b64 s[16:17], s[26:27]
	s_cbranch_execz .LBB2_557
; %bb.554:
	v_cmp_eq_f32_e64 s[14:15], v12, v10
	s_mov_b64 s[26:27], 0
	s_and_saveexec_b64 s[28:29], s[14:15]
; %bb.555:
	v_cmp_lt_f32_e64 s[14:15], v13, v11
	s_and_b64 s[26:27], s[14:15], exec
; %bb.556:
	s_or_b64 exec, exec, s[28:29]
	s_orn2_b64 s[14:15], s[26:27], exec
.LBB2_557:
	s_or_b64 exec, exec, s[16:17]
	s_andn2_b64 s[16:17], s[22:23], exec
	s_and_b64 s[14:15], s[14:15], exec
	s_or_b64 s[22:23], s[16:17], s[14:15]
.LBB2_558:
	s_or_b64 exec, exec, s[24:25]
	s_xor_b64 s[14:15], s[22:23], -1
                                        ; implicit-def: $vgpr14_vgpr15
	s_and_saveexec_b64 s[16:17], s[14:15]
	s_xor_b64 s[14:15], exec, s[16:17]
	s_cbranch_execz .LBB2_560
; %bb.559:
	v_lshl_add_u32 v14, v19, 3, v37
	ds_read_b64 v[14:15], v14 offset:8
.LBB2_560:
	s_or_saveexec_b64 s[14:15], s[14:15]
	s_waitcnt lgkmcnt(0)
	v_pk_mov_b32 v[16:17], v[12:13], v[12:13] op_sel:[0,1]
	s_xor_b64 exec, exec, s[14:15]
	s_cbranch_execz .LBB2_562
; %bb.561:
	v_lshl_add_u32 v14, v18, 3, v37
	ds_read_b64 v[16:17], v14 offset:8
	v_pk_mov_b32 v[14:15], v[10:11], v[10:11] op_sel:[0,1]
.LBB2_562:
	s_or_b64 exec, exec, s[14:15]
	v_add_u32_e32 v21, 1, v18
	v_cndmask_b32_e64 v22, v18, v21, s[22:23]
	v_add_u32_e32 v20, 1, v19
	v_cmp_ge_i32_e64 s[14:15], v22, v34
                                        ; implicit-def: $sgpr24_sgpr25
	s_and_saveexec_b64 s[16:17], s[14:15]
	s_xor_b64 s[14:15], exec, s[16:17]
; %bb.563:
	s_mov_b64 s[24:25], 0
; %bb.564:
	s_or_saveexec_b64 s[26:27], s[14:15]
	v_cndmask_b32_e64 v23, v20, v19, s[22:23]
	s_xor_b64 exec, exec, s[26:27]
	s_cbranch_execz .LBB2_570
; %bb.565:
	v_cmp_lt_i32_e64 s[14:15], v23, v35
	s_waitcnt lgkmcnt(0)
	v_cmp_nlt_f32_e64 s[16:17], v16, v14
	s_and_b64 s[28:29], s[14:15], s[16:17]
	s_mov_b64 s[14:15], -1
	s_and_saveexec_b64 s[16:17], s[28:29]
	s_cbranch_execz .LBB2_569
; %bb.566:
	v_cmp_eq_f32_e64 s[14:15], v16, v14
	s_mov_b64 s[28:29], 0
	s_and_saveexec_b64 s[30:31], s[14:15]
; %bb.567:
	v_cmp_lt_f32_e64 s[14:15], v17, v15
	s_and_b64 s[28:29], s[14:15], exec
; %bb.568:
	s_or_b64 exec, exec, s[30:31]
	s_orn2_b64 s[14:15], s[28:29], exec
.LBB2_569:
	s_or_b64 exec, exec, s[16:17]
	s_andn2_b64 s[16:17], s[24:25], exec
	s_and_b64 s[14:15], s[14:15], exec
	s_or_b64 s[24:25], s[16:17], s[14:15]
.LBB2_570:
	s_or_b64 exec, exec, s[26:27]
	s_xor_b64 s[14:15], s[24:25], -1
                                        ; implicit-def: $vgpr18_vgpr19
	s_and_saveexec_b64 s[16:17], s[14:15]
	s_xor_b64 s[14:15], exec, s[16:17]
	s_cbranch_execz .LBB2_572
; %bb.571:
	v_lshl_add_u32 v18, v23, 3, v37
	ds_read_b64 v[18:19], v18 offset:8
.LBB2_572:
	s_or_saveexec_b64 s[14:15], s[14:15]
	s_waitcnt lgkmcnt(0)
	v_pk_mov_b32 v[20:21], v[16:17], v[16:17] op_sel:[0,1]
	s_xor_b64 exec, exec, s[14:15]
	s_cbranch_execz .LBB2_574
; %bb.573:
	v_lshl_add_u32 v18, v22, 3, v37
	ds_read_b64 v[20:21], v18 offset:8
	v_pk_mov_b32 v[18:19], v[14:15], v[14:15] op_sel:[0,1]
.LBB2_574:
	s_or_b64 exec, exec, s[14:15]
	v_add_u32_e32 v25, 1, v22
	v_cndmask_b32_e64 v26, v22, v25, s[24:25]
	v_add_u32_e32 v24, 1, v23
	v_cmp_ge_i32_e64 s[14:15], v26, v34
                                        ; implicit-def: $sgpr26_sgpr27
	s_and_saveexec_b64 s[16:17], s[14:15]
	s_xor_b64 s[14:15], exec, s[16:17]
; %bb.575:
	s_mov_b64 s[26:27], 0
; %bb.576:
	s_or_saveexec_b64 s[28:29], s[14:15]
	v_cndmask_b32_e64 v27, v24, v23, s[24:25]
	s_xor_b64 exec, exec, s[28:29]
	s_cbranch_execz .LBB2_582
; %bb.577:
	v_cmp_lt_i32_e64 s[14:15], v27, v35
	s_waitcnt lgkmcnt(0)
	v_cmp_nlt_f32_e64 s[16:17], v20, v18
	s_and_b64 s[30:31], s[14:15], s[16:17]
	s_mov_b64 s[14:15], -1
	s_and_saveexec_b64 s[16:17], s[30:31]
	s_cbranch_execz .LBB2_581
; %bb.578:
	v_cmp_eq_f32_e64 s[14:15], v20, v18
	s_mov_b64 s[30:31], 0
	s_and_saveexec_b64 s[34:35], s[14:15]
; %bb.579:
	v_cmp_lt_f32_e64 s[14:15], v21, v19
	s_and_b64 s[30:31], s[14:15], exec
; %bb.580:
	s_or_b64 exec, exec, s[34:35]
	s_orn2_b64 s[14:15], s[30:31], exec
.LBB2_581:
	s_or_b64 exec, exec, s[16:17]
	s_andn2_b64 s[16:17], s[26:27], exec
	s_and_b64 s[14:15], s[14:15], exec
	s_or_b64 s[26:27], s[16:17], s[14:15]
.LBB2_582:
	s_or_b64 exec, exec, s[28:29]
	s_xor_b64 s[14:15], s[26:27], -1
                                        ; implicit-def: $vgpr22_vgpr23
	s_and_saveexec_b64 s[16:17], s[14:15]
	s_xor_b64 s[14:15], exec, s[16:17]
	s_cbranch_execz .LBB2_584
; %bb.583:
	v_lshl_add_u32 v22, v27, 3, v37
	ds_read_b64 v[22:23], v22 offset:8
.LBB2_584:
	s_or_saveexec_b64 s[14:15], s[14:15]
	s_waitcnt lgkmcnt(0)
	v_pk_mov_b32 v[24:25], v[20:21], v[20:21] op_sel:[0,1]
	s_xor_b64 exec, exec, s[14:15]
	s_cbranch_execz .LBB2_586
; %bb.585:
	v_lshl_add_u32 v22, v26, 3, v37
	ds_read_b64 v[24:25], v22 offset:8
	v_pk_mov_b32 v[22:23], v[18:19], v[18:19] op_sel:[0,1]
.LBB2_586:
	s_or_b64 exec, exec, s[14:15]
	v_add_u32_e32 v29, 1, v26
	v_cndmask_b32_e64 v30, v26, v29, s[26:27]
	v_add_u32_e32 v28, 1, v27
	v_cmp_ge_i32_e64 s[14:15], v30, v34
                                        ; implicit-def: $sgpr28_sgpr29
	s_and_saveexec_b64 s[16:17], s[14:15]
	s_xor_b64 s[14:15], exec, s[16:17]
; %bb.587:
	s_mov_b64 s[28:29], 0
; %bb.588:
	s_or_saveexec_b64 s[30:31], s[14:15]
	v_cndmask_b32_e64 v31, v28, v27, s[26:27]
	s_xor_b64 exec, exec, s[30:31]
	s_cbranch_execz .LBB2_594
; %bb.589:
	v_cmp_lt_i32_e64 s[14:15], v31, v35
	s_waitcnt lgkmcnt(0)
	v_cmp_nlt_f32_e64 s[16:17], v24, v22
	s_and_b64 s[34:35], s[14:15], s[16:17]
	s_mov_b64 s[14:15], -1
	s_and_saveexec_b64 s[16:17], s[34:35]
	s_cbranch_execz .LBB2_593
; %bb.590:
	v_cmp_eq_f32_e64 s[14:15], v24, v22
	s_mov_b64 s[34:35], 0
	s_and_saveexec_b64 s[36:37], s[14:15]
; %bb.591:
	v_cmp_lt_f32_e64 s[14:15], v25, v23
	s_and_b64 s[34:35], s[14:15], exec
; %bb.592:
	s_or_b64 exec, exec, s[36:37]
	s_orn2_b64 s[14:15], s[34:35], exec
.LBB2_593:
	s_or_b64 exec, exec, s[16:17]
	s_andn2_b64 s[16:17], s[28:29], exec
	s_and_b64 s[14:15], s[14:15], exec
	s_or_b64 s[28:29], s[16:17], s[14:15]
.LBB2_594:
	s_or_b64 exec, exec, s[30:31]
	s_xor_b64 s[14:15], s[28:29], -1
                                        ; implicit-def: $vgpr26_vgpr27
	s_and_saveexec_b64 s[16:17], s[14:15]
	s_xor_b64 s[14:15], exec, s[16:17]
	s_cbranch_execz .LBB2_596
; %bb.595:
	v_lshl_add_u32 v26, v31, 3, v37
	ds_read_b64 v[26:27], v26 offset:8
.LBB2_596:
	s_or_saveexec_b64 s[14:15], s[14:15]
	s_waitcnt lgkmcnt(0)
	v_pk_mov_b32 v[28:29], v[24:25], v[24:25] op_sel:[0,1]
	s_xor_b64 exec, exec, s[14:15]
	s_cbranch_execz .LBB2_598
; %bb.597:
	v_lshl_add_u32 v26, v30, 3, v37
	ds_read_b64 v[28:29], v26 offset:8
	v_pk_mov_b32 v[26:27], v[22:23], v[22:23] op_sel:[0,1]
.LBB2_598:
	s_or_b64 exec, exec, s[14:15]
	v_add_u32_e32 v33, 1, v30
	v_cndmask_b32_e64 v36, v30, v33, s[28:29]
	v_add_u32_e32 v32, 1, v31
	v_cmp_ge_i32_e64 s[14:15], v36, v34
                                        ; implicit-def: $sgpr30_sgpr31
	s_and_saveexec_b64 s[16:17], s[14:15]
	s_xor_b64 s[14:15], exec, s[16:17]
; %bb.599:
	s_mov_b64 s[30:31], 0
; %bb.600:
	s_or_saveexec_b64 s[34:35], s[14:15]
	v_cndmask_b32_e64 v38, v32, v31, s[28:29]
	s_xor_b64 exec, exec, s[34:35]
	s_cbranch_execz .LBB2_606
; %bb.601:
	v_cmp_lt_i32_e64 s[14:15], v38, v35
	s_waitcnt lgkmcnt(0)
	v_cmp_nlt_f32_e64 s[16:17], v28, v26
	s_and_b64 s[36:37], s[14:15], s[16:17]
	s_mov_b64 s[14:15], -1
	s_and_saveexec_b64 s[16:17], s[36:37]
	s_cbranch_execz .LBB2_605
; %bb.602:
	v_cmp_eq_f32_e64 s[14:15], v28, v26
	s_mov_b64 s[36:37], 0
	s_and_saveexec_b64 s[38:39], s[14:15]
; %bb.603:
	v_cmp_lt_f32_e64 s[14:15], v29, v27
	s_and_b64 s[36:37], s[14:15], exec
; %bb.604:
	s_or_b64 exec, exec, s[38:39]
	s_orn2_b64 s[14:15], s[36:37], exec
.LBB2_605:
	s_or_b64 exec, exec, s[16:17]
	s_andn2_b64 s[16:17], s[30:31], exec
	s_and_b64 s[14:15], s[14:15], exec
	s_or_b64 s[30:31], s[16:17], s[14:15]
.LBB2_606:
	s_or_b64 exec, exec, s[34:35]
	s_xor_b64 s[14:15], s[30:31], -1
                                        ; implicit-def: $vgpr30_vgpr31
	s_and_saveexec_b64 s[16:17], s[14:15]
	s_xor_b64 s[14:15], exec, s[16:17]
	s_cbranch_execz .LBB2_608
; %bb.607:
	v_lshl_add_u32 v30, v38, 3, v37
	ds_read_b64 v[30:31], v30 offset:8
                                        ; implicit-def: $vgpr37
.LBB2_608:
	s_or_saveexec_b64 s[14:15], s[14:15]
	s_waitcnt lgkmcnt(0)
	v_pk_mov_b32 v[32:33], v[28:29], v[28:29] op_sel:[0,1]
	s_xor_b64 exec, exec, s[14:15]
	s_cbranch_execz .LBB2_610
; %bb.609:
	v_lshl_add_u32 v30, v36, 3, v37
	ds_read_b64 v[32:33], v30 offset:8
	v_pk_mov_b32 v[30:31], v[26:27], v[26:27] op_sel:[0,1]
.LBB2_610:
	s_or_b64 exec, exec, s[14:15]
	v_add_u32_e32 v37, 1, v36
	v_cndmask_b32_e64 v36, v36, v37, s[30:31]
	v_cmp_lt_i32_e64 s[14:15], v36, v34
	s_mov_b64 s[16:17], 0
	s_and_saveexec_b64 s[34:35], s[14:15]
	s_cbranch_execnz .LBB2_620
; %bb.611:
	s_or_b64 exec, exec, s[34:35]
	s_and_saveexec_b64 s[14:15], vcc
	s_cbranch_execnz .LBB2_625
.LBB2_612:
	s_or_b64 exec, exec, s[14:15]
	s_and_saveexec_b64 s[14:15], s[0:1]
	s_cbranch_execnz .LBB2_626
.LBB2_613:
	s_or_b64 exec, exec, s[14:15]
	s_and_saveexec_b64 s[0:1], s[2:3]
	s_cbranch_execnz .LBB2_627
.LBB2_614:
	s_or_b64 exec, exec, s[0:1]
	s_and_saveexec_b64 s[0:1], s[4:5]
	s_cbranch_execnz .LBB2_628
.LBB2_615:
	s_or_b64 exec, exec, s[0:1]
	s_and_saveexec_b64 s[0:1], s[6:7]
	s_cbranch_execnz .LBB2_629
.LBB2_616:
	s_or_b64 exec, exec, s[0:1]
	s_and_saveexec_b64 s[0:1], s[8:9]
	s_cbranch_execnz .LBB2_630
.LBB2_617:
	s_or_b64 exec, exec, s[0:1]
	s_and_saveexec_b64 s[0:1], s[10:11]
	s_cbranch_execnz .LBB2_631
.LBB2_618:
	s_or_b64 exec, exec, s[0:1]
	s_and_saveexec_b64 s[0:1], s[12:13]
	s_cbranch_execnz .LBB2_632
.LBB2_619:
	s_endpgm
.LBB2_620:
	v_add_u32_e32 v34, 1, v38
	v_cndmask_b32_e64 v34, v34, v38, s[30:31]
	v_cmp_lt_i32_e64 s[14:15], v34, v35
	s_waitcnt lgkmcnt(0)
	v_cmp_nlt_f32_e64 s[16:17], v32, v30
	s_and_b64 s[36:37], s[14:15], s[16:17]
	s_mov_b64 s[14:15], -1
	s_and_saveexec_b64 s[16:17], s[36:37]
	s_cbranch_execz .LBB2_624
; %bb.621:
	v_cmp_eq_f32_e64 s[14:15], v32, v30
	s_mov_b64 s[36:37], 0
	s_and_saveexec_b64 s[38:39], s[14:15]
; %bb.622:
	v_cmp_lt_f32_e64 s[14:15], v33, v31
	s_and_b64 s[36:37], s[14:15], exec
; %bb.623:
	s_or_b64 exec, exec, s[38:39]
	s_orn2_b64 s[14:15], s[36:37], exec
.LBB2_624:
	s_or_b64 exec, exec, s[16:17]
	s_and_b64 s[16:17], s[14:15], exec
	s_or_b64 exec, exec, s[34:35]
	s_and_saveexec_b64 s[14:15], vcc
	s_cbranch_execz .LBB2_612
.LBB2_625:
	v_cndmask_b32_e64 v2, v2, v4, s[18:19]
	v_cndmask_b32_e64 v3, v3, v5, s[18:19]
	global_store_dwordx2 v[0:1], v[2:3], off
	s_or_b64 exec, exec, s[14:15]
	s_and_saveexec_b64 s[14:15], s[0:1]
	s_cbranch_execz .LBB2_613
.LBB2_626:
	v_cndmask_b32_e64 v2, v6, v8, s[20:21]
	v_cndmask_b32_e64 v3, v7, v9, s[20:21]
	global_store_dwordx2 v[0:1], v[2:3], off offset:8
	s_or_b64 exec, exec, s[14:15]
	s_and_saveexec_b64 s[0:1], s[2:3]
	s_cbranch_execz .LBB2_614
.LBB2_627:
	v_cndmask_b32_e64 v2, v10, v12, s[22:23]
	v_cndmask_b32_e64 v3, v11, v13, s[22:23]
	global_store_dwordx2 v[0:1], v[2:3], off offset:16
	s_or_b64 exec, exec, s[0:1]
	s_and_saveexec_b64 s[0:1], s[4:5]
	s_cbranch_execz .LBB2_615
.LBB2_628:
	v_cndmask_b32_e64 v2, v14, v16, s[24:25]
	v_cndmask_b32_e64 v3, v15, v17, s[24:25]
	global_store_dwordx2 v[0:1], v[2:3], off offset:24
	s_or_b64 exec, exec, s[0:1]
	s_and_saveexec_b64 s[0:1], s[6:7]
	s_cbranch_execz .LBB2_616
.LBB2_629:
	v_cndmask_b32_e64 v2, v18, v20, s[26:27]
	v_cndmask_b32_e64 v3, v19, v21, s[26:27]
	global_store_dwordx2 v[0:1], v[2:3], off offset:32
	s_or_b64 exec, exec, s[0:1]
	s_and_saveexec_b64 s[0:1], s[8:9]
	s_cbranch_execz .LBB2_617
.LBB2_630:
	v_cndmask_b32_e64 v2, v22, v24, s[28:29]
	v_cndmask_b32_e64 v3, v23, v25, s[28:29]
	global_store_dwordx2 v[0:1], v[2:3], off offset:40
	s_or_b64 exec, exec, s[0:1]
	s_and_saveexec_b64 s[0:1], s[10:11]
	s_cbranch_execz .LBB2_618
.LBB2_631:
	v_cndmask_b32_e64 v2, v26, v28, s[30:31]
	v_cndmask_b32_e64 v3, v27, v29, s[30:31]
	global_store_dwordx2 v[0:1], v[2:3], off offset:48
	s_or_b64 exec, exec, s[0:1]
	s_and_saveexec_b64 s[0:1], s[12:13]
	s_cbranch_execz .LBB2_619
.LBB2_632:
	s_waitcnt lgkmcnt(0)
	v_cndmask_b32_e64 v3, v31, v33, s[16:17]
	v_cndmask_b32_e64 v2, v30, v32, s[16:17]
	global_store_dwordx2 v[0:1], v[2:3], off offset:56
	s_endpgm
	.section	.rodata,"a",@progbits
	.p2align	6, 0x0
	.amdhsa_kernel _Z19sort_keys_segmentedILj256ELj32ELj8ELb0EN10test_utils16custom_test_typeIfEENS0_4lessEEvPT3_PKjT4_
		.amdhsa_group_segment_fixed_size 16448
		.amdhsa_private_segment_fixed_size 0
		.amdhsa_kernarg_size 20
		.amdhsa_user_sgpr_count 6
		.amdhsa_user_sgpr_private_segment_buffer 1
		.amdhsa_user_sgpr_dispatch_ptr 0
		.amdhsa_user_sgpr_queue_ptr 0
		.amdhsa_user_sgpr_kernarg_segment_ptr 1
		.amdhsa_user_sgpr_dispatch_id 0
		.amdhsa_user_sgpr_flat_scratch_init 0
		.amdhsa_user_sgpr_kernarg_preload_length 0
		.amdhsa_user_sgpr_kernarg_preload_offset 0
		.amdhsa_user_sgpr_private_segment_size 0
		.amdhsa_uses_dynamic_stack 0
		.amdhsa_system_sgpr_private_segment_wavefront_offset 0
		.amdhsa_system_sgpr_workgroup_id_x 1
		.amdhsa_system_sgpr_workgroup_id_y 0
		.amdhsa_system_sgpr_workgroup_id_z 0
		.amdhsa_system_sgpr_workgroup_info 0
		.amdhsa_system_vgpr_workitem_id 0
		.amdhsa_next_free_vgpr 44
		.amdhsa_next_free_sgpr 40
		.amdhsa_accum_offset 44
		.amdhsa_reserve_vcc 1
		.amdhsa_reserve_flat_scratch 0
		.amdhsa_float_round_mode_32 0
		.amdhsa_float_round_mode_16_64 0
		.amdhsa_float_denorm_mode_32 3
		.amdhsa_float_denorm_mode_16_64 3
		.amdhsa_dx10_clamp 1
		.amdhsa_ieee_mode 1
		.amdhsa_fp16_overflow 0
		.amdhsa_tg_split 0
		.amdhsa_exception_fp_ieee_invalid_op 0
		.amdhsa_exception_fp_denorm_src 0
		.amdhsa_exception_fp_ieee_div_zero 0
		.amdhsa_exception_fp_ieee_overflow 0
		.amdhsa_exception_fp_ieee_underflow 0
		.amdhsa_exception_fp_ieee_inexact 0
		.amdhsa_exception_int_div_zero 0
	.end_amdhsa_kernel
	.section	.text._Z19sort_keys_segmentedILj256ELj32ELj8ELb0EN10test_utils16custom_test_typeIfEENS0_4lessEEvPT3_PKjT4_,"axG",@progbits,_Z19sort_keys_segmentedILj256ELj32ELj8ELb0EN10test_utils16custom_test_typeIfEENS0_4lessEEvPT3_PKjT4_,comdat
.Lfunc_end2:
	.size	_Z19sort_keys_segmentedILj256ELj32ELj8ELb0EN10test_utils16custom_test_typeIfEENS0_4lessEEvPT3_PKjT4_, .Lfunc_end2-_Z19sort_keys_segmentedILj256ELj32ELj8ELb0EN10test_utils16custom_test_typeIfEENS0_4lessEEvPT3_PKjT4_
                                        ; -- End function
	.section	.AMDGPU.csdata,"",@progbits
; Kernel info:
; codeLenInByte = 14852
; NumSgprs: 44
; NumVgprs: 44
; NumAgprs: 0
; TotalNumVgprs: 44
; ScratchSize: 0
; MemoryBound: 0
; FloatMode: 240
; IeeeMode: 1
; LDSByteSize: 16448 bytes/workgroup (compile time only)
; SGPRBlocks: 5
; VGPRBlocks: 5
; NumSGPRsForWavesPerEU: 44
; NumVGPRsForWavesPerEU: 44
; AccumOffset: 44
; Occupancy: 3
; WaveLimiterHint : 0
; COMPUTE_PGM_RSRC2:SCRATCH_EN: 0
; COMPUTE_PGM_RSRC2:USER_SGPR: 6
; COMPUTE_PGM_RSRC2:TRAP_HANDLER: 0
; COMPUTE_PGM_RSRC2:TGID_X_EN: 1
; COMPUTE_PGM_RSRC2:TGID_Y_EN: 0
; COMPUTE_PGM_RSRC2:TGID_Z_EN: 0
; COMPUTE_PGM_RSRC2:TIDIG_COMP_CNT: 0
; COMPUTE_PGM_RSRC3_GFX90A:ACCUM_OFFSET: 10
; COMPUTE_PGM_RSRC3_GFX90A:TG_SPLIT: 0
	.section	.text._Z19sort_keys_segmentedILj256ELj32ELj4ELb0EN10test_utils16custom_test_typeIfEENS0_4lessEEvPT3_PKjT4_,"axG",@progbits,_Z19sort_keys_segmentedILj256ELj32ELj4ELb0EN10test_utils16custom_test_typeIfEENS0_4lessEEvPT3_PKjT4_,comdat
	.protected	_Z19sort_keys_segmentedILj256ELj32ELj4ELb0EN10test_utils16custom_test_typeIfEENS0_4lessEEvPT3_PKjT4_ ; -- Begin function _Z19sort_keys_segmentedILj256ELj32ELj4ELb0EN10test_utils16custom_test_typeIfEENS0_4lessEEvPT3_PKjT4_
	.globl	_Z19sort_keys_segmentedILj256ELj32ELj4ELb0EN10test_utils16custom_test_typeIfEENS0_4lessEEvPT3_PKjT4_
	.p2align	8
	.type	_Z19sort_keys_segmentedILj256ELj32ELj4ELb0EN10test_utils16custom_test_typeIfEENS0_4lessEEvPT3_PKjT4_,@function
_Z19sort_keys_segmentedILj256ELj32ELj4ELb0EN10test_utils16custom_test_typeIfEENS0_4lessEEvPT3_PKjT4_: ; @_Z19sort_keys_segmentedILj256ELj32ELj4ELb0EN10test_utils16custom_test_typeIfEENS0_4lessEEvPT3_PKjT4_
; %bb.0:
	s_load_dwordx4 s[0:3], s[4:5], 0x0
	v_lshrrev_b32_e32 v16, 5, v0
	v_lshl_or_b32 v2, s6, 3, v16
	v_mov_b32_e32 v3, 0
	v_lshlrev_b64 v[0:1], 2, v[2:3]
	s_waitcnt lgkmcnt(0)
	v_mov_b32_e32 v4, s3
	v_add_co_u32_e32 v0, vcc, s2, v0
	v_addc_co_u32_e32 v1, vcc, v4, v1, vcc
	global_load_dword v18, v[0:1], off
	v_mbcnt_lo_u32_b32 v0, -1, 0
	v_mbcnt_hi_u32_b32 v0, -1, v0
	v_lshlrev_b32_e32 v2, 7, v2
	v_lshlrev_b32_e32 v22, 2, v0
	v_lshlrev_b64 v[0:1], 3, v[2:3]
	v_and_b32_e32 v19, 0x7c, v22
	v_mov_b32_e32 v4, s1
	v_add_co_u32_e32 v0, vcc, s0, v0
	v_lshlrev_b32_e32 v2, 3, v19
	v_addc_co_u32_e32 v1, vcc, v4, v1, vcc
	v_add_co_u32_e32 v0, vcc, v0, v2
	v_addc_co_u32_e32 v1, vcc, 0, v1, vcc
	s_mov_b32 s2, 0
	v_mov_b32_e32 v4, v3
	s_waitcnt vmcnt(0)
	v_cmp_lt_u32_e32 vcc, v19, v18
	s_and_saveexec_b64 s[0:1], vcc
	s_cbranch_execz .LBB3_2
; %bb.1:
	global_load_dwordx2 v[4:5], v[0:1], off
	s_waitcnt vmcnt(0)
	v_mov_b32_e32 v3, v4
	v_mov_b32_e32 v4, v5
.LBB3_2:
	s_or_b64 exec, exec, s[0:1]
	v_or_b32_e32 v6, 1, v19
	s_mov_b32 s3, s2
	v_cmp_lt_u32_e64 s[0:1], v6, v18
	v_pk_mov_b32 v[8:9], s[2:3], s[2:3] op_sel:[0,1]
	s_and_saveexec_b64 s[2:3], s[0:1]
	s_cbranch_execz .LBB3_4
; %bb.3:
	global_load_dwordx2 v[8:9], v[0:1], off offset:8
.LBB3_4:
	s_or_b64 exec, exec, s[2:3]
	v_or_b32_e32 v10, 2, v19
	v_cmp_lt_u32_e64 s[2:3], v10, v18
	v_mov_b32_e32 v12, 0
	v_mov_b32_e32 v14, 0
	;; [unrolled: 1-line block ×3, first 2 shown]
	s_and_saveexec_b64 s[4:5], s[2:3]
	s_cbranch_execz .LBB3_6
; %bb.5:
	global_load_dwordx2 v[14:15], v[0:1], off offset:16
.LBB3_6:
	s_or_b64 exec, exec, s[4:5]
	v_or_b32_e32 v5, 3, v19
	v_cmp_lt_u32_e64 s[4:5], v5, v18
	v_mov_b32_e32 v13, 0
	s_and_saveexec_b64 s[6:7], s[4:5]
	s_cbranch_execz .LBB3_8
; %bb.7:
	global_load_dwordx2 v[12:13], v[0:1], off offset:24
.LBB3_8:
	s_or_b64 exec, exec, s[6:7]
	s_getpc_b64 s[6:7]
	s_add_u32 s6, s6, _ZN9sort_lastIN10test_utils4lessENS0_16custom_test_typeIfEEE5valueE@rel32@lo+4
	s_addc_u32 s7, s7, _ZN9sort_lastIN10test_utils4lessENS0_16custom_test_typeIfEEE5valueE@rel32@hi+12
	s_load_dwordx2 s[8:9], s[6:7], 0x0
	v_cmp_lt_i32_e64 s[6:7], v6, v18
	s_waitcnt lgkmcnt(0)
	v_pk_mov_b32 v[6:7], s[8:9], s[8:9] op_sel:[0,1]
	v_mov_b32_e32 v11, s8
	v_mov_b32_e32 v17, s9
	s_and_saveexec_b64 s[10:11], s[6:7]
	s_cbranch_execz .LBB3_14
; %bb.9:
	s_waitcnt vmcnt(0)
	v_cmp_nlt_f32_e64 s[6:7], s8, v8
	s_mov_b64 s[14:15], -1
	s_and_saveexec_b64 s[12:13], s[6:7]
	s_cbranch_execz .LBB3_13
; %bb.10:
	v_cmp_eq_f32_e64 s[6:7], s8, v8
	s_mov_b64 s[14:15], 0
	s_and_saveexec_b64 s[16:17], s[6:7]
; %bb.11:
	v_cmp_lt_f32_e64 s[6:7], s9, v9
	s_and_b64 s[14:15], s[6:7], exec
; %bb.12:
	s_or_b64 exec, exec, s[16:17]
	s_orn2_b64 s[14:15], s[14:15], exec
.LBB3_13:
	s_or_b64 exec, exec, s[12:13]
	v_mov_b32_e32 v6, s8
	v_cndmask_b32_e64 v11, v6, v8, s[14:15]
	v_mov_b32_e32 v6, s9
	v_cndmask_b32_e64 v17, v6, v9, s[14:15]
	v_pk_mov_b32 v[6:7], v[8:9], v[8:9] op_sel:[0,1]
.LBB3_14:
	s_or_b64 exec, exec, s[10:11]
	v_cmp_lt_i32_e64 s[6:7], v10, v18
	s_waitcnt vmcnt(0)
	v_mov_b32_e32 v9, v11
	v_mov_b32_e32 v10, v17
	s_and_saveexec_b64 s[8:9], s[6:7]
	s_cbranch_execz .LBB3_20
; %bb.15:
	v_cmp_nlt_f32_e64 s[6:7], v11, v14
	s_mov_b64 s[12:13], -1
	s_and_saveexec_b64 s[10:11], s[6:7]
	s_cbranch_execz .LBB3_19
; %bb.16:
	v_cmp_eq_f32_e64 s[6:7], v11, v14
	s_mov_b64 s[12:13], 0
	s_and_saveexec_b64 s[14:15], s[6:7]
; %bb.17:
	v_cmp_lt_f32_e64 s[6:7], v17, v15
	s_and_b64 s[12:13], s[6:7], exec
; %bb.18:
	s_or_b64 exec, exec, s[14:15]
	s_orn2_b64 s[12:13], s[12:13], exec
.LBB3_19:
	s_or_b64 exec, exec, s[10:11]
	v_cndmask_b32_e64 v11, v11, v14, s[12:13]
	v_cndmask_b32_e64 v17, v17, v15, s[12:13]
	v_mov_b32_e32 v9, v14
	v_mov_b32_e32 v10, v15
.LBB3_20:
	s_or_b64 exec, exec, s[8:9]
	v_cmp_lt_i32_e64 s[6:7], v5, v18
	v_cndmask_b32_e64 v14, v17, v13, s[6:7]
	v_cndmask_b32_e64 v15, v11, v12, s[6:7]
	v_cmp_lt_i32_e64 s[6:7], v19, v18
	v_mov_b32_e32 v5, v6
	s_and_saveexec_b64 s[12:13], s[6:7]
	s_cbranch_execz .LBB3_34
; %bb.21:
	v_cmp_lt_f32_e64 s[10:11], v15, v9
	v_cmp_nlt_f32_e64 s[6:7], v15, v9
	s_and_saveexec_b64 s[14:15], s[6:7]
; %bb.22:
	v_cmp_eq_f32_e64 s[6:7], v15, v9
	v_cmp_lt_f32_e64 s[8:9], v14, v10
	s_and_b64 s[6:7], s[6:7], s[8:9]
	s_andn2_b64 s[8:9], s[10:11], exec
	s_and_b64 s[6:7], s[6:7], exec
	s_or_b64 s[10:11], s[8:9], s[6:7]
; %bb.23:
	s_or_b64 exec, exec, s[14:15]
	v_mov_b32_e32 v5, v14
	v_mov_b32_e32 v8, v15
	s_and_saveexec_b64 s[6:7], s[10:11]
; %bb.24:
	v_mov_b32_e32 v5, v10
	v_mov_b32_e32 v8, v9
	;; [unrolled: 1-line block ×4, first 2 shown]
; %bb.25:
	s_or_b64 exec, exec, s[6:7]
	v_cmp_neq_f32_e64 s[8:9], v6, v3
	v_cmp_nlt_f32_e64 s[10:11], v7, v4
	v_cmp_nlt_f32_e64 s[6:7], v6, v3
	s_or_b64 s[8:9], s[8:9], s[10:11]
	s_and_b64 s[6:7], s[6:7], s[8:9]
	v_cndmask_b32_e64 v12, v3, v6, s[6:7]
	v_cndmask_b32_e64 v11, v4, v7, s[6:7]
	v_cmp_nlt_f32_e64 s[8:9], v9, v12
	s_mov_b64 s[10:11], -1
	s_and_saveexec_b64 s[14:15], s[8:9]
	s_xor_b64 s[14:15], exec, s[14:15]
; %bb.26:
	v_cmp_eq_f32_e64 s[8:9], v9, v12
	v_cmp_lt_f32_e64 s[10:11], v10, v11
	s_and_b64 s[8:9], s[8:9], s[10:11]
	s_orn2_b64 s[10:11], s[8:9], exec
; %bb.27:
	s_or_b64 exec, exec, s[14:15]
	v_mov_b32_e32 v17, v10
	v_mov_b32_e32 v15, v9
	s_and_saveexec_b64 s[8:9], s[10:11]
; %bb.28:
	v_mov_b32_e32 v17, v11
	v_mov_b32_e32 v15, v12
	;; [unrolled: 1-line block ×4, first 2 shown]
; %bb.29:
	s_or_b64 exec, exec, s[8:9]
	v_cndmask_b32_e64 v4, v7, v4, s[6:7]
	v_cndmask_b32_e64 v6, v6, v3, s[6:7]
	v_cmp_neq_f32_e64 s[8:9], v12, v6
	v_cmp_nlt_f32_e64 s[10:11], v11, v4
	v_cmp_nlt_f32_e64 s[6:7], v12, v6
	s_or_b64 s[8:9], s[8:9], s[10:11]
	s_and_b64 s[6:7], s[6:7], s[8:9]
	v_cmp_neq_f32_e64 s[8:9], v8, v15
	v_cmp_nlt_f32_e64 s[10:11], v5, v17
	v_cndmask_b32_e64 v3, v12, v6, s[6:7]
	v_cndmask_b32_e64 v7, v4, v11, s[6:7]
	;; [unrolled: 1-line block ×4, first 2 shown]
	v_cmp_nlt_f32_e64 s[6:7], v8, v15
	s_or_b64 s[8:9], s[8:9], s[10:11]
	s_and_b64 s[6:7], s[6:7], s[8:9]
	v_cndmask_b32_e64 v9, v8, v15, s[6:7]
	v_cndmask_b32_e64 v10, v5, v17, s[6:7]
	v_cmp_eq_f32_e64 s[8:9], v9, v13
	v_cmp_lt_f32_e64 s[10:11], v10, v7
	v_cndmask_b32_e64 v14, v17, v5, s[6:7]
	v_cndmask_b32_e64 v15, v15, v8, s[6:7]
	v_cmp_lt_f32_e64 s[6:7], v9, v13
	s_and_b64 s[8:9], s[8:9], s[10:11]
	s_or_b64 s[6:7], s[6:7], s[8:9]
                                        ; implicit-def: $vgpr4_vgpr5
	s_and_saveexec_b64 s[8:9], s[6:7]
	s_xor_b64 s[6:7], exec, s[8:9]
; %bb.30:
	v_mov_b32_e32 v6, v7
	v_mov_b32_e32 v8, v12
	;; [unrolled: 1-line block ×3, first 2 shown]
	v_pk_mov_b32 v[4:5], v[8:9], v[8:9] op_sel:[0,1]
	v_mov_b32_e32 v9, v13
	v_pk_mov_b32 v[10:11], v[6:7], v[6:7] op_sel:[0,1]
                                        ; implicit-def: $vgpr12_vgpr13
; %bb.31:
	s_andn2_saveexec_b64 s[6:7], s[6:7]
; %bb.32:
	v_pk_mov_b32 v[4:5], v[12:13], v[12:13] op_sel:[0,1]
; %bb.33:
	s_or_b64 exec, exec, s[6:7]
.LBB3_34:
	s_or_b64 exec, exec, s[12:13]
	s_movk_i32 s6, 0x408
	v_mad_u32_u24 v21, v16, s6, v2
	; wave barrier
	ds_write2_b32 v21, v4, v5 offset0:1 offset1:2
	ds_write2_b32 v21, v7, v9 offset0:3 offset1:4
	ds_write2_b32 v21, v10, v15 offset0:5 offset1:6
	ds_write2_b32 v21, v3, v14 offset1:7
	v_and_b32_e32 v3, 0x78, v22
	v_min_i32_e32 v6, v18, v3
	v_add_u32_e32 v3, 4, v6
	v_min_i32_e32 v23, v18, v3
	v_add_u32_e32 v3, 4, v23
	v_and_b32_e32 v2, 4, v22
	v_min_i32_e32 v24, v18, v3
	v_min_i32_e32 v2, v18, v2
	v_sub_u32_e32 v5, v24, v23
	v_lshlrev_b32_e32 v3, 3, v6
	v_sub_u32_e32 v4, v23, v6
	v_mad_u32_u24 v3, v16, s6, v3
	v_sub_u32_e32 v7, v2, v5
	v_cmp_ge_i32_e64 s[6:7], v2, v5
	v_cndmask_b32_e64 v7, 0, v7, s[6:7]
	v_min_i32_e32 v4, v2, v4
	v_mul_u32_u24_e32 v20, 0x408, v16
	v_cmp_lt_i32_e64 s[6:7], v7, v4
	; wave barrier
	s_and_saveexec_b64 s[8:9], s[6:7]
	s_cbranch_execz .LBB3_42
; %bb.35:
	v_lshlrev_b32_e32 v5, 3, v23
	v_lshlrev_b32_e32 v8, 3, v2
	v_add3_u32 v5, v20, v5, v8
	s_mov_b64 s[10:11], 0
                                        ; implicit-def: $sgpr12_sgpr13
	s_branch .LBB3_38
.LBB3_36:                               ;   in Loop: Header=BB3_38 Depth=1
	s_or_b64 exec, exec, s[18:19]
	s_andn2_b64 s[6:7], s[12:13], exec
	s_and_b64 s[12:13], s[16:17], exec
	s_or_b64 s[12:13], s[6:7], s[12:13]
.LBB3_37:                               ;   in Loop: Header=BB3_38 Depth=1
	s_or_b64 exec, exec, s[14:15]
	v_add_u32_e32 v9, 1, v8
	v_cndmask_b32_e64 v4, v4, v8, s[12:13]
	v_cndmask_b32_e64 v7, v9, v7, s[12:13]
	v_cmp_ge_i32_e64 s[6:7], v7, v4
	s_or_b64 s[10:11], s[6:7], s[10:11]
	s_andn2_b64 exec, exec, s[10:11]
	s_cbranch_execz .LBB3_41
.LBB3_38:                               ; =>This Inner Loop Header: Depth=1
	v_sub_u32_e32 v8, v4, v7
	v_lshrrev_b32_e32 v9, 31, v8
	v_add_u32_e32 v8, v8, v9
	v_ashrrev_i32_e32 v8, 1, v8
	v_add_u32_e32 v8, v8, v7
	v_lshl_add_u32 v9, v8, 3, v3
	v_not_b32_e32 v10, v8
	v_lshl_add_u32 v10, v10, 3, v5
	ds_read_b32 v11, v9
	ds_read_b32 v12, v10
	s_or_b64 s[12:13], s[12:13], exec
	s_waitcnt lgkmcnt(0)
	v_cmp_nlt_f32_e64 s[6:7], v12, v11
	s_and_saveexec_b64 s[14:15], s[6:7]
	s_cbranch_execz .LBB3_37
; %bb.39:                               ;   in Loop: Header=BB3_38 Depth=1
	v_cmp_eq_f32_e64 s[6:7], v12, v11
	s_mov_b64 s[16:17], 0
	s_and_saveexec_b64 s[18:19], s[6:7]
	s_cbranch_execz .LBB3_36
; %bb.40:                               ;   in Loop: Header=BB3_38 Depth=1
	ds_read_b32 v10, v10 offset:4
	ds_read_b32 v9, v9 offset:4
	s_waitcnt lgkmcnt(0)
	v_cmp_lt_f32_e64 s[6:7], v10, v9
	s_and_b64 s[16:17], s[6:7], exec
	s_branch .LBB3_36
.LBB3_41:
	s_or_b64 exec, exec, s[10:11]
.LBB3_42:
	s_or_b64 exec, exec, s[8:9]
	v_add_u32_e32 v2, v23, v2
	v_sub_u32_e32 v10, v2, v7
	v_lshl_add_u32 v8, v7, 3, v3
	v_lshl_add_u32 v11, v10, 3, v20
	ds_read_b64 v[2:3], v8
	ds_read_b64 v[4:5], v11
	v_cmp_le_i32_e64 s[6:7], v24, v10
                                        ; implicit-def: $sgpr10_sgpr11
	s_and_saveexec_b64 s[8:9], s[6:7]
	s_xor_b64 s[6:7], exec, s[8:9]
; %bb.43:
	s_mov_b64 s[10:11], 0
; %bb.44:
	s_or_saveexec_b64 s[12:13], s[6:7]
	v_add_u32_e32 v12, v7, v6
	s_xor_b64 exec, exec, s[12:13]
	s_cbranch_execz .LBB3_50
; %bb.45:
	v_cmp_gt_i32_e64 s[6:7], v23, v12
	s_waitcnt lgkmcnt(0)
	v_cmp_nlt_f32_e64 s[8:9], v4, v2
	s_and_b64 s[14:15], s[6:7], s[8:9]
	s_mov_b64 s[6:7], -1
	s_and_saveexec_b64 s[8:9], s[14:15]
	s_cbranch_execz .LBB3_49
; %bb.46:
	v_cmp_eq_f32_e64 s[6:7], v4, v2
	s_mov_b64 s[14:15], 0
	s_and_saveexec_b64 s[16:17], s[6:7]
; %bb.47:
	v_cmp_lt_f32_e64 s[6:7], v5, v3
	s_and_b64 s[14:15], s[6:7], exec
; %bb.48:
	s_or_b64 exec, exec, s[16:17]
	s_orn2_b64 s[6:7], s[14:15], exec
.LBB3_49:
	s_or_b64 exec, exec, s[8:9]
	s_andn2_b64 s[8:9], s[10:11], exec
	s_and_b64 s[6:7], s[6:7], exec
	s_or_b64 s[10:11], s[8:9], s[6:7]
.LBB3_50:
	s_or_b64 exec, exec, s[12:13]
	s_xor_b64 s[6:7], s[10:11], -1
                                        ; implicit-def: $vgpr6_vgpr7
	s_and_saveexec_b64 s[8:9], s[6:7]
	s_xor_b64 s[6:7], exec, s[8:9]
	s_cbranch_execz .LBB3_52
; %bb.51:
	ds_read_b64 v[6:7], v8 offset:8
                                        ; implicit-def: $vgpr11
.LBB3_52:
	s_or_saveexec_b64 s[6:7], s[6:7]
	s_waitcnt lgkmcnt(0)
	v_pk_mov_b32 v[8:9], v[4:5], v[4:5] op_sel:[0,1]
	s_xor_b64 exec, exec, s[6:7]
	s_cbranch_execz .LBB3_54
; %bb.53:
	ds_read_b64 v[8:9], v11 offset:8
	v_pk_mov_b32 v[6:7], v[2:3], v[2:3] op_sel:[0,1]
.LBB3_54:
	s_or_b64 exec, exec, s[6:7]
	v_add_u32_e32 v11, 1, v10
	v_add_u32_e32 v13, 1, v12
	v_cndmask_b32_e64 v15, v10, v11, s[10:11]
	v_cndmask_b32_e64 v14, v13, v12, s[10:11]
	v_cmp_lt_i32_e64 s[6:7], v15, v24
	s_mov_b64 s[12:13], 0
	s_and_saveexec_b64 s[14:15], s[6:7]
	s_cbranch_execz .LBB3_60
; %bb.55:
	v_cmp_lt_i32_e64 s[6:7], v14, v23
	s_waitcnt lgkmcnt(0)
	v_cmp_nlt_f32_e64 s[8:9], v8, v6
	s_and_b64 s[12:13], s[6:7], s[8:9]
	s_mov_b64 s[6:7], -1
	s_and_saveexec_b64 s[8:9], s[12:13]
	s_cbranch_execz .LBB3_59
; %bb.56:
	v_cmp_eq_f32_e64 s[6:7], v8, v6
	s_mov_b64 s[12:13], 0
	s_and_saveexec_b64 s[16:17], s[6:7]
; %bb.57:
	v_cmp_lt_f32_e64 s[6:7], v9, v7
	s_and_b64 s[12:13], s[6:7], exec
; %bb.58:
	s_or_b64 exec, exec, s[16:17]
	s_orn2_b64 s[6:7], s[12:13], exec
.LBB3_59:
	s_or_b64 exec, exec, s[8:9]
	s_and_b64 s[12:13], s[6:7], exec
.LBB3_60:
	s_or_b64 exec, exec, s[14:15]
	s_xor_b64 s[6:7], s[12:13], -1
                                        ; implicit-def: $vgpr10_vgpr11
	s_and_saveexec_b64 s[8:9], s[6:7]
	s_xor_b64 s[6:7], exec, s[8:9]
	s_cbranch_execz .LBB3_62
; %bb.61:
	v_lshl_add_u32 v10, v14, 3, v20
	ds_read_b64 v[10:11], v10 offset:8
.LBB3_62:
	s_or_saveexec_b64 s[6:7], s[6:7]
	s_waitcnt lgkmcnt(0)
	v_pk_mov_b32 v[12:13], v[8:9], v[8:9] op_sel:[0,1]
	s_xor_b64 exec, exec, s[6:7]
	s_cbranch_execz .LBB3_64
; %bb.63:
	v_lshl_add_u32 v10, v15, 3, v20
	ds_read_b64 v[12:13], v10 offset:8
	v_pk_mov_b32 v[10:11], v[6:7], v[6:7] op_sel:[0,1]
.LBB3_64:
	s_or_b64 exec, exec, s[6:7]
	v_add_u32_e32 v17, 1, v15
	v_cndmask_b32_e64 v25, v15, v17, s[12:13]
	v_add_u32_e32 v16, 1, v14
	v_cmp_ge_i32_e64 s[6:7], v25, v24
                                        ; implicit-def: $sgpr14_sgpr15
	s_and_saveexec_b64 s[8:9], s[6:7]
	s_xor_b64 s[6:7], exec, s[8:9]
; %bb.65:
	s_mov_b64 s[14:15], 0
; %bb.66:
	s_or_saveexec_b64 s[16:17], s[6:7]
	v_cndmask_b32_e64 v26, v16, v14, s[12:13]
	s_xor_b64 exec, exec, s[16:17]
	s_cbranch_execz .LBB3_72
; %bb.67:
	v_cmp_lt_i32_e64 s[6:7], v26, v23
	s_waitcnt lgkmcnt(0)
	v_cmp_nlt_f32_e64 s[8:9], v12, v10
	s_and_b64 s[18:19], s[6:7], s[8:9]
	s_mov_b64 s[6:7], -1
	s_and_saveexec_b64 s[8:9], s[18:19]
	s_cbranch_execz .LBB3_71
; %bb.68:
	v_cmp_eq_f32_e64 s[6:7], v12, v10
	s_mov_b64 s[18:19], 0
	s_and_saveexec_b64 s[20:21], s[6:7]
; %bb.69:
	v_cmp_lt_f32_e64 s[6:7], v13, v11
	s_and_b64 s[18:19], s[6:7], exec
; %bb.70:
	s_or_b64 exec, exec, s[20:21]
	s_orn2_b64 s[6:7], s[18:19], exec
.LBB3_71:
	s_or_b64 exec, exec, s[8:9]
	s_andn2_b64 s[8:9], s[14:15], exec
	s_and_b64 s[6:7], s[6:7], exec
	s_or_b64 s[14:15], s[8:9], s[6:7]
.LBB3_72:
	s_or_b64 exec, exec, s[16:17]
	s_xor_b64 s[6:7], s[14:15], -1
                                        ; implicit-def: $vgpr14_vgpr15
	s_and_saveexec_b64 s[8:9], s[6:7]
	s_xor_b64 s[6:7], exec, s[8:9]
	s_cbranch_execz .LBB3_74
; %bb.73:
	v_lshl_add_u32 v14, v26, 3, v20
	ds_read_b64 v[14:15], v14 offset:8
.LBB3_74:
	s_or_saveexec_b64 s[6:7], s[6:7]
	s_waitcnt lgkmcnt(0)
	v_pk_mov_b32 v[16:17], v[12:13], v[12:13] op_sel:[0,1]
	s_xor_b64 exec, exec, s[6:7]
	s_cbranch_execz .LBB3_76
; %bb.75:
	v_lshl_add_u32 v14, v25, 3, v20
	ds_read_b64 v[16:17], v14 offset:8
	v_pk_mov_b32 v[14:15], v[10:11], v[10:11] op_sel:[0,1]
.LBB3_76:
	s_or_b64 exec, exec, s[6:7]
	v_add_u32_e32 v27, 1, v25
	v_cndmask_b32_e64 v25, v25, v27, s[14:15]
	v_cmp_lt_i32_e64 s[6:7], v25, v24
	s_mov_b64 s[8:9], 0
	s_and_saveexec_b64 s[16:17], s[6:7]
	s_cbranch_execz .LBB3_82
; %bb.77:
	v_add_u32_e32 v24, 1, v26
	v_cndmask_b32_e64 v24, v24, v26, s[14:15]
	v_cmp_lt_i32_e64 s[6:7], v24, v23
	s_waitcnt lgkmcnt(0)
	v_cmp_nlt_f32_e64 s[8:9], v16, v14
	s_and_b64 s[18:19], s[6:7], s[8:9]
	s_mov_b64 s[6:7], -1
	s_and_saveexec_b64 s[8:9], s[18:19]
	s_cbranch_execz .LBB3_81
; %bb.78:
	v_cmp_eq_f32_e64 s[6:7], v16, v14
	s_mov_b64 s[18:19], 0
	s_and_saveexec_b64 s[20:21], s[6:7]
; %bb.79:
	v_cmp_lt_f32_e64 s[6:7], v17, v15
	s_and_b64 s[18:19], s[6:7], exec
; %bb.80:
	s_or_b64 exec, exec, s[20:21]
	s_orn2_b64 s[6:7], s[18:19], exec
.LBB3_81:
	s_or_b64 exec, exec, s[8:9]
	s_and_b64 s[8:9], s[6:7], exec
.LBB3_82:
	s_or_b64 exec, exec, s[16:17]
	v_cndmask_b32_e64 v7, v7, v9, s[12:13]
	v_cndmask_b32_e64 v6, v6, v8, s[12:13]
	;; [unrolled: 1-line block ×6, first 2 shown]
	s_waitcnt lgkmcnt(0)
	v_cndmask_b32_e64 v5, v15, v17, s[8:9]
	v_cndmask_b32_e64 v4, v14, v16, s[8:9]
	; wave barrier
	ds_write2_b64 v21, v[2:3], v[6:7] offset1:1
	ds_write2_b64 v21, v[10:11], v[4:5] offset0:2 offset1:3
	v_and_b32_e32 v3, 0x70, v22
	v_min_i32_e32 v6, v18, v3
	v_add_u32_e32 v3, 8, v6
	v_min_i32_e32 v23, v18, v3
	v_add_u32_e32 v3, 8, v23
	v_and_b32_e32 v2, 12, v22
	v_min_i32_e32 v24, v18, v3
	v_min_i32_e32 v2, v18, v2
	v_sub_u32_e32 v5, v24, v23
	v_sub_u32_e32 v4, v23, v6
	;; [unrolled: 1-line block ×3, first 2 shown]
	v_cmp_ge_i32_e64 s[6:7], v2, v5
	v_cndmask_b32_e64 v7, 0, v7, s[6:7]
	v_min_i32_e32 v4, v2, v4
	v_lshl_add_u32 v3, v6, 3, v20
	v_cmp_lt_i32_e64 s[6:7], v7, v4
	; wave barrier
	s_and_saveexec_b64 s[8:9], s[6:7]
	s_cbranch_execz .LBB3_90
; %bb.83:
	v_lshlrev_b32_e32 v5, 3, v23
	v_lshlrev_b32_e32 v8, 3, v2
	v_add3_u32 v5, v20, v5, v8
	s_mov_b64 s[10:11], 0
                                        ; implicit-def: $sgpr12_sgpr13
	s_branch .LBB3_86
.LBB3_84:                               ;   in Loop: Header=BB3_86 Depth=1
	s_or_b64 exec, exec, s[18:19]
	s_andn2_b64 s[6:7], s[12:13], exec
	s_and_b64 s[12:13], s[16:17], exec
	s_or_b64 s[12:13], s[6:7], s[12:13]
.LBB3_85:                               ;   in Loop: Header=BB3_86 Depth=1
	s_or_b64 exec, exec, s[14:15]
	v_add_u32_e32 v9, 1, v8
	v_cndmask_b32_e64 v4, v4, v8, s[12:13]
	v_cndmask_b32_e64 v7, v9, v7, s[12:13]
	v_cmp_ge_i32_e64 s[6:7], v7, v4
	s_or_b64 s[10:11], s[6:7], s[10:11]
	s_andn2_b64 exec, exec, s[10:11]
	s_cbranch_execz .LBB3_89
.LBB3_86:                               ; =>This Inner Loop Header: Depth=1
	v_sub_u32_e32 v8, v4, v7
	v_lshrrev_b32_e32 v9, 31, v8
	v_add_u32_e32 v8, v8, v9
	v_ashrrev_i32_e32 v8, 1, v8
	v_add_u32_e32 v8, v8, v7
	v_lshl_add_u32 v9, v8, 3, v3
	v_not_b32_e32 v10, v8
	v_lshl_add_u32 v10, v10, 3, v5
	ds_read_b32 v11, v9
	ds_read_b32 v12, v10
	s_or_b64 s[12:13], s[12:13], exec
	s_waitcnt lgkmcnt(0)
	v_cmp_nlt_f32_e64 s[6:7], v12, v11
	s_and_saveexec_b64 s[14:15], s[6:7]
	s_cbranch_execz .LBB3_85
; %bb.87:                               ;   in Loop: Header=BB3_86 Depth=1
	v_cmp_eq_f32_e64 s[6:7], v12, v11
	s_mov_b64 s[16:17], 0
	s_and_saveexec_b64 s[18:19], s[6:7]
	s_cbranch_execz .LBB3_84
; %bb.88:                               ;   in Loop: Header=BB3_86 Depth=1
	ds_read_b32 v10, v10 offset:4
	ds_read_b32 v9, v9 offset:4
	s_waitcnt lgkmcnt(0)
	v_cmp_lt_f32_e64 s[6:7], v10, v9
	s_and_b64 s[16:17], s[6:7], exec
	s_branch .LBB3_84
.LBB3_89:
	s_or_b64 exec, exec, s[10:11]
.LBB3_90:
	s_or_b64 exec, exec, s[8:9]
	v_add_u32_e32 v2, v23, v2
	v_sub_u32_e32 v10, v2, v7
	v_lshl_add_u32 v8, v7, 3, v3
	v_lshl_add_u32 v11, v10, 3, v20
	ds_read_b64 v[2:3], v8
	ds_read_b64 v[4:5], v11
	v_cmp_le_i32_e64 s[6:7], v24, v10
                                        ; implicit-def: $sgpr10_sgpr11
	s_and_saveexec_b64 s[8:9], s[6:7]
	s_xor_b64 s[6:7], exec, s[8:9]
; %bb.91:
	s_mov_b64 s[10:11], 0
; %bb.92:
	s_or_saveexec_b64 s[12:13], s[6:7]
	v_add_u32_e32 v12, v7, v6
	s_xor_b64 exec, exec, s[12:13]
	s_cbranch_execz .LBB3_98
; %bb.93:
	v_cmp_gt_i32_e64 s[6:7], v23, v12
	s_waitcnt lgkmcnt(0)
	v_cmp_nlt_f32_e64 s[8:9], v4, v2
	s_and_b64 s[14:15], s[6:7], s[8:9]
	s_mov_b64 s[6:7], -1
	s_and_saveexec_b64 s[8:9], s[14:15]
	s_cbranch_execz .LBB3_97
; %bb.94:
	v_cmp_eq_f32_e64 s[6:7], v4, v2
	s_mov_b64 s[14:15], 0
	s_and_saveexec_b64 s[16:17], s[6:7]
; %bb.95:
	v_cmp_lt_f32_e64 s[6:7], v5, v3
	s_and_b64 s[14:15], s[6:7], exec
; %bb.96:
	s_or_b64 exec, exec, s[16:17]
	s_orn2_b64 s[6:7], s[14:15], exec
.LBB3_97:
	s_or_b64 exec, exec, s[8:9]
	s_andn2_b64 s[8:9], s[10:11], exec
	s_and_b64 s[6:7], s[6:7], exec
	s_or_b64 s[10:11], s[8:9], s[6:7]
.LBB3_98:
	s_or_b64 exec, exec, s[12:13]
	s_xor_b64 s[6:7], s[10:11], -1
                                        ; implicit-def: $vgpr6_vgpr7
	s_and_saveexec_b64 s[8:9], s[6:7]
	s_xor_b64 s[6:7], exec, s[8:9]
	s_cbranch_execz .LBB3_100
; %bb.99:
	ds_read_b64 v[6:7], v8 offset:8
                                        ; implicit-def: $vgpr11
.LBB3_100:
	s_or_saveexec_b64 s[6:7], s[6:7]
	s_waitcnt lgkmcnt(0)
	v_pk_mov_b32 v[8:9], v[4:5], v[4:5] op_sel:[0,1]
	s_xor_b64 exec, exec, s[6:7]
	s_cbranch_execz .LBB3_102
; %bb.101:
	ds_read_b64 v[8:9], v11 offset:8
	v_pk_mov_b32 v[6:7], v[2:3], v[2:3] op_sel:[0,1]
.LBB3_102:
	s_or_b64 exec, exec, s[6:7]
	v_add_u32_e32 v11, 1, v10
	v_add_u32_e32 v13, 1, v12
	v_cndmask_b32_e64 v15, v10, v11, s[10:11]
	v_cndmask_b32_e64 v14, v13, v12, s[10:11]
	v_cmp_lt_i32_e64 s[6:7], v15, v24
	s_mov_b64 s[12:13], 0
	s_and_saveexec_b64 s[14:15], s[6:7]
	s_cbranch_execz .LBB3_108
; %bb.103:
	v_cmp_lt_i32_e64 s[6:7], v14, v23
	s_waitcnt lgkmcnt(0)
	v_cmp_nlt_f32_e64 s[8:9], v8, v6
	s_and_b64 s[12:13], s[6:7], s[8:9]
	s_mov_b64 s[6:7], -1
	s_and_saveexec_b64 s[8:9], s[12:13]
	s_cbranch_execz .LBB3_107
; %bb.104:
	v_cmp_eq_f32_e64 s[6:7], v8, v6
	s_mov_b64 s[12:13], 0
	s_and_saveexec_b64 s[16:17], s[6:7]
; %bb.105:
	v_cmp_lt_f32_e64 s[6:7], v9, v7
	s_and_b64 s[12:13], s[6:7], exec
; %bb.106:
	s_or_b64 exec, exec, s[16:17]
	s_orn2_b64 s[6:7], s[12:13], exec
.LBB3_107:
	s_or_b64 exec, exec, s[8:9]
	s_and_b64 s[12:13], s[6:7], exec
.LBB3_108:
	s_or_b64 exec, exec, s[14:15]
	s_xor_b64 s[6:7], s[12:13], -1
                                        ; implicit-def: $vgpr10_vgpr11
	s_and_saveexec_b64 s[8:9], s[6:7]
	s_xor_b64 s[6:7], exec, s[8:9]
	s_cbranch_execz .LBB3_110
; %bb.109:
	v_lshl_add_u32 v10, v14, 3, v20
	ds_read_b64 v[10:11], v10 offset:8
.LBB3_110:
	s_or_saveexec_b64 s[6:7], s[6:7]
	s_waitcnt lgkmcnt(0)
	v_pk_mov_b32 v[12:13], v[8:9], v[8:9] op_sel:[0,1]
	s_xor_b64 exec, exec, s[6:7]
	s_cbranch_execz .LBB3_112
; %bb.111:
	v_lshl_add_u32 v10, v15, 3, v20
	ds_read_b64 v[12:13], v10 offset:8
	v_pk_mov_b32 v[10:11], v[6:7], v[6:7] op_sel:[0,1]
.LBB3_112:
	s_or_b64 exec, exec, s[6:7]
	v_add_u32_e32 v17, 1, v15
	v_cndmask_b32_e64 v25, v15, v17, s[12:13]
	v_add_u32_e32 v16, 1, v14
	v_cmp_ge_i32_e64 s[6:7], v25, v24
                                        ; implicit-def: $sgpr14_sgpr15
	s_and_saveexec_b64 s[8:9], s[6:7]
	s_xor_b64 s[6:7], exec, s[8:9]
; %bb.113:
	s_mov_b64 s[14:15], 0
; %bb.114:
	s_or_saveexec_b64 s[16:17], s[6:7]
	v_cndmask_b32_e64 v26, v16, v14, s[12:13]
	s_xor_b64 exec, exec, s[16:17]
	s_cbranch_execz .LBB3_120
; %bb.115:
	v_cmp_lt_i32_e64 s[6:7], v26, v23
	s_waitcnt lgkmcnt(0)
	v_cmp_nlt_f32_e64 s[8:9], v12, v10
	s_and_b64 s[18:19], s[6:7], s[8:9]
	s_mov_b64 s[6:7], -1
	s_and_saveexec_b64 s[8:9], s[18:19]
	s_cbranch_execz .LBB3_119
; %bb.116:
	v_cmp_eq_f32_e64 s[6:7], v12, v10
	s_mov_b64 s[18:19], 0
	s_and_saveexec_b64 s[20:21], s[6:7]
; %bb.117:
	v_cmp_lt_f32_e64 s[6:7], v13, v11
	s_and_b64 s[18:19], s[6:7], exec
; %bb.118:
	s_or_b64 exec, exec, s[20:21]
	s_orn2_b64 s[6:7], s[18:19], exec
.LBB3_119:
	s_or_b64 exec, exec, s[8:9]
	s_andn2_b64 s[8:9], s[14:15], exec
	s_and_b64 s[6:7], s[6:7], exec
	s_or_b64 s[14:15], s[8:9], s[6:7]
.LBB3_120:
	s_or_b64 exec, exec, s[16:17]
	s_xor_b64 s[6:7], s[14:15], -1
                                        ; implicit-def: $vgpr14_vgpr15
	s_and_saveexec_b64 s[8:9], s[6:7]
	s_xor_b64 s[6:7], exec, s[8:9]
	s_cbranch_execz .LBB3_122
; %bb.121:
	v_lshl_add_u32 v14, v26, 3, v20
	ds_read_b64 v[14:15], v14 offset:8
.LBB3_122:
	s_or_saveexec_b64 s[6:7], s[6:7]
	s_waitcnt lgkmcnt(0)
	v_pk_mov_b32 v[16:17], v[12:13], v[12:13] op_sel:[0,1]
	s_xor_b64 exec, exec, s[6:7]
	s_cbranch_execz .LBB3_124
; %bb.123:
	v_lshl_add_u32 v14, v25, 3, v20
	ds_read_b64 v[16:17], v14 offset:8
	v_pk_mov_b32 v[14:15], v[10:11], v[10:11] op_sel:[0,1]
.LBB3_124:
	s_or_b64 exec, exec, s[6:7]
	v_add_u32_e32 v27, 1, v25
	v_cndmask_b32_e64 v25, v25, v27, s[14:15]
	v_cmp_lt_i32_e64 s[6:7], v25, v24
	s_mov_b64 s[8:9], 0
	s_and_saveexec_b64 s[16:17], s[6:7]
	s_cbranch_execz .LBB3_130
; %bb.125:
	v_add_u32_e32 v24, 1, v26
	v_cndmask_b32_e64 v24, v24, v26, s[14:15]
	v_cmp_lt_i32_e64 s[6:7], v24, v23
	s_waitcnt lgkmcnt(0)
	v_cmp_nlt_f32_e64 s[8:9], v16, v14
	s_and_b64 s[18:19], s[6:7], s[8:9]
	s_mov_b64 s[6:7], -1
	s_and_saveexec_b64 s[8:9], s[18:19]
	s_cbranch_execz .LBB3_129
; %bb.126:
	v_cmp_eq_f32_e64 s[6:7], v16, v14
	s_mov_b64 s[18:19], 0
	s_and_saveexec_b64 s[20:21], s[6:7]
; %bb.127:
	v_cmp_lt_f32_e64 s[6:7], v17, v15
	s_and_b64 s[18:19], s[6:7], exec
; %bb.128:
	s_or_b64 exec, exec, s[20:21]
	s_orn2_b64 s[6:7], s[18:19], exec
.LBB3_129:
	s_or_b64 exec, exec, s[8:9]
	s_and_b64 s[8:9], s[6:7], exec
.LBB3_130:
	s_or_b64 exec, exec, s[16:17]
	v_cndmask_b32_e64 v7, v7, v9, s[12:13]
	v_cndmask_b32_e64 v6, v6, v8, s[12:13]
	;; [unrolled: 1-line block ×6, first 2 shown]
	s_waitcnt lgkmcnt(0)
	v_cndmask_b32_e64 v5, v15, v17, s[8:9]
	v_cndmask_b32_e64 v4, v14, v16, s[8:9]
	; wave barrier
	ds_write2_b64 v21, v[2:3], v[6:7] offset1:1
	ds_write2_b64 v21, v[10:11], v[4:5] offset0:2 offset1:3
	v_and_b32_e32 v3, 0x60, v22
	v_min_i32_e32 v6, v18, v3
	v_add_u32_e32 v3, 16, v6
	v_min_i32_e32 v23, v18, v3
	v_add_u32_e32 v3, 16, v23
	v_and_b32_e32 v2, 28, v22
	v_min_i32_e32 v24, v18, v3
	v_min_i32_e32 v2, v18, v2
	v_sub_u32_e32 v5, v24, v23
	v_sub_u32_e32 v4, v23, v6
	;; [unrolled: 1-line block ×3, first 2 shown]
	v_cmp_ge_i32_e64 s[6:7], v2, v5
	v_cndmask_b32_e64 v7, 0, v7, s[6:7]
	v_min_i32_e32 v4, v2, v4
	v_lshl_add_u32 v3, v6, 3, v20
	v_cmp_lt_i32_e64 s[6:7], v7, v4
	; wave barrier
	s_and_saveexec_b64 s[8:9], s[6:7]
	s_cbranch_execz .LBB3_138
; %bb.131:
	v_lshlrev_b32_e32 v5, 3, v23
	v_lshlrev_b32_e32 v8, 3, v2
	v_add3_u32 v5, v20, v5, v8
	s_mov_b64 s[10:11], 0
                                        ; implicit-def: $sgpr12_sgpr13
	s_branch .LBB3_134
.LBB3_132:                              ;   in Loop: Header=BB3_134 Depth=1
	s_or_b64 exec, exec, s[18:19]
	s_andn2_b64 s[6:7], s[12:13], exec
	s_and_b64 s[12:13], s[16:17], exec
	s_or_b64 s[12:13], s[6:7], s[12:13]
.LBB3_133:                              ;   in Loop: Header=BB3_134 Depth=1
	s_or_b64 exec, exec, s[14:15]
	v_add_u32_e32 v9, 1, v8
	v_cndmask_b32_e64 v4, v4, v8, s[12:13]
	v_cndmask_b32_e64 v7, v9, v7, s[12:13]
	v_cmp_ge_i32_e64 s[6:7], v7, v4
	s_or_b64 s[10:11], s[6:7], s[10:11]
	s_andn2_b64 exec, exec, s[10:11]
	s_cbranch_execz .LBB3_137
.LBB3_134:                              ; =>This Inner Loop Header: Depth=1
	v_sub_u32_e32 v8, v4, v7
	v_lshrrev_b32_e32 v9, 31, v8
	v_add_u32_e32 v8, v8, v9
	v_ashrrev_i32_e32 v8, 1, v8
	v_add_u32_e32 v8, v8, v7
	v_lshl_add_u32 v9, v8, 3, v3
	v_not_b32_e32 v10, v8
	v_lshl_add_u32 v10, v10, 3, v5
	ds_read_b32 v11, v9
	ds_read_b32 v12, v10
	s_or_b64 s[12:13], s[12:13], exec
	s_waitcnt lgkmcnt(0)
	v_cmp_nlt_f32_e64 s[6:7], v12, v11
	s_and_saveexec_b64 s[14:15], s[6:7]
	s_cbranch_execz .LBB3_133
; %bb.135:                              ;   in Loop: Header=BB3_134 Depth=1
	v_cmp_eq_f32_e64 s[6:7], v12, v11
	s_mov_b64 s[16:17], 0
	s_and_saveexec_b64 s[18:19], s[6:7]
	s_cbranch_execz .LBB3_132
; %bb.136:                              ;   in Loop: Header=BB3_134 Depth=1
	ds_read_b32 v10, v10 offset:4
	ds_read_b32 v9, v9 offset:4
	s_waitcnt lgkmcnt(0)
	v_cmp_lt_f32_e64 s[6:7], v10, v9
	s_and_b64 s[16:17], s[6:7], exec
	s_branch .LBB3_132
.LBB3_137:
	s_or_b64 exec, exec, s[10:11]
.LBB3_138:
	s_or_b64 exec, exec, s[8:9]
	v_add_u32_e32 v2, v23, v2
	v_sub_u32_e32 v10, v2, v7
	v_lshl_add_u32 v8, v7, 3, v3
	v_lshl_add_u32 v11, v10, 3, v20
	ds_read_b64 v[2:3], v8
	ds_read_b64 v[4:5], v11
	v_cmp_le_i32_e64 s[6:7], v24, v10
                                        ; implicit-def: $sgpr10_sgpr11
	s_and_saveexec_b64 s[8:9], s[6:7]
	s_xor_b64 s[6:7], exec, s[8:9]
; %bb.139:
	s_mov_b64 s[10:11], 0
; %bb.140:
	s_or_saveexec_b64 s[12:13], s[6:7]
	v_add_u32_e32 v12, v7, v6
	s_xor_b64 exec, exec, s[12:13]
	s_cbranch_execz .LBB3_146
; %bb.141:
	v_cmp_gt_i32_e64 s[6:7], v23, v12
	s_waitcnt lgkmcnt(0)
	v_cmp_nlt_f32_e64 s[8:9], v4, v2
	s_and_b64 s[14:15], s[6:7], s[8:9]
	s_mov_b64 s[6:7], -1
	s_and_saveexec_b64 s[8:9], s[14:15]
	s_cbranch_execz .LBB3_145
; %bb.142:
	v_cmp_eq_f32_e64 s[6:7], v4, v2
	s_mov_b64 s[14:15], 0
	s_and_saveexec_b64 s[16:17], s[6:7]
; %bb.143:
	v_cmp_lt_f32_e64 s[6:7], v5, v3
	s_and_b64 s[14:15], s[6:7], exec
; %bb.144:
	s_or_b64 exec, exec, s[16:17]
	s_orn2_b64 s[6:7], s[14:15], exec
.LBB3_145:
	s_or_b64 exec, exec, s[8:9]
	s_andn2_b64 s[8:9], s[10:11], exec
	s_and_b64 s[6:7], s[6:7], exec
	s_or_b64 s[10:11], s[8:9], s[6:7]
.LBB3_146:
	s_or_b64 exec, exec, s[12:13]
	s_xor_b64 s[6:7], s[10:11], -1
                                        ; implicit-def: $vgpr6_vgpr7
	s_and_saveexec_b64 s[8:9], s[6:7]
	s_xor_b64 s[6:7], exec, s[8:9]
	s_cbranch_execz .LBB3_148
; %bb.147:
	ds_read_b64 v[6:7], v8 offset:8
                                        ; implicit-def: $vgpr11
.LBB3_148:
	s_or_saveexec_b64 s[6:7], s[6:7]
	s_waitcnt lgkmcnt(0)
	v_pk_mov_b32 v[8:9], v[4:5], v[4:5] op_sel:[0,1]
	s_xor_b64 exec, exec, s[6:7]
	s_cbranch_execz .LBB3_150
; %bb.149:
	ds_read_b64 v[8:9], v11 offset:8
	v_pk_mov_b32 v[6:7], v[2:3], v[2:3] op_sel:[0,1]
.LBB3_150:
	s_or_b64 exec, exec, s[6:7]
	v_add_u32_e32 v11, 1, v10
	v_add_u32_e32 v13, 1, v12
	v_cndmask_b32_e64 v15, v10, v11, s[10:11]
	v_cndmask_b32_e64 v14, v13, v12, s[10:11]
	v_cmp_lt_i32_e64 s[6:7], v15, v24
	s_mov_b64 s[12:13], 0
	s_and_saveexec_b64 s[14:15], s[6:7]
	s_cbranch_execz .LBB3_156
; %bb.151:
	v_cmp_lt_i32_e64 s[6:7], v14, v23
	s_waitcnt lgkmcnt(0)
	v_cmp_nlt_f32_e64 s[8:9], v8, v6
	s_and_b64 s[12:13], s[6:7], s[8:9]
	s_mov_b64 s[6:7], -1
	s_and_saveexec_b64 s[8:9], s[12:13]
	s_cbranch_execz .LBB3_155
; %bb.152:
	v_cmp_eq_f32_e64 s[6:7], v8, v6
	s_mov_b64 s[12:13], 0
	s_and_saveexec_b64 s[16:17], s[6:7]
; %bb.153:
	v_cmp_lt_f32_e64 s[6:7], v9, v7
	s_and_b64 s[12:13], s[6:7], exec
; %bb.154:
	s_or_b64 exec, exec, s[16:17]
	s_orn2_b64 s[6:7], s[12:13], exec
.LBB3_155:
	s_or_b64 exec, exec, s[8:9]
	s_and_b64 s[12:13], s[6:7], exec
.LBB3_156:
	s_or_b64 exec, exec, s[14:15]
	s_xor_b64 s[6:7], s[12:13], -1
                                        ; implicit-def: $vgpr10_vgpr11
	s_and_saveexec_b64 s[8:9], s[6:7]
	s_xor_b64 s[6:7], exec, s[8:9]
	s_cbranch_execz .LBB3_158
; %bb.157:
	v_lshl_add_u32 v10, v14, 3, v20
	ds_read_b64 v[10:11], v10 offset:8
.LBB3_158:
	s_or_saveexec_b64 s[6:7], s[6:7]
	s_waitcnt lgkmcnt(0)
	v_pk_mov_b32 v[12:13], v[8:9], v[8:9] op_sel:[0,1]
	s_xor_b64 exec, exec, s[6:7]
	s_cbranch_execz .LBB3_160
; %bb.159:
	v_lshl_add_u32 v10, v15, 3, v20
	ds_read_b64 v[12:13], v10 offset:8
	v_pk_mov_b32 v[10:11], v[6:7], v[6:7] op_sel:[0,1]
.LBB3_160:
	s_or_b64 exec, exec, s[6:7]
	v_add_u32_e32 v17, 1, v15
	v_cndmask_b32_e64 v25, v15, v17, s[12:13]
	v_add_u32_e32 v16, 1, v14
	v_cmp_ge_i32_e64 s[6:7], v25, v24
                                        ; implicit-def: $sgpr14_sgpr15
	s_and_saveexec_b64 s[8:9], s[6:7]
	s_xor_b64 s[6:7], exec, s[8:9]
; %bb.161:
	s_mov_b64 s[14:15], 0
; %bb.162:
	s_or_saveexec_b64 s[16:17], s[6:7]
	v_cndmask_b32_e64 v26, v16, v14, s[12:13]
	s_xor_b64 exec, exec, s[16:17]
	s_cbranch_execz .LBB3_168
; %bb.163:
	v_cmp_lt_i32_e64 s[6:7], v26, v23
	s_waitcnt lgkmcnt(0)
	v_cmp_nlt_f32_e64 s[8:9], v12, v10
	s_and_b64 s[18:19], s[6:7], s[8:9]
	s_mov_b64 s[6:7], -1
	s_and_saveexec_b64 s[8:9], s[18:19]
	s_cbranch_execz .LBB3_167
; %bb.164:
	v_cmp_eq_f32_e64 s[6:7], v12, v10
	s_mov_b64 s[18:19], 0
	s_and_saveexec_b64 s[20:21], s[6:7]
; %bb.165:
	v_cmp_lt_f32_e64 s[6:7], v13, v11
	s_and_b64 s[18:19], s[6:7], exec
; %bb.166:
	s_or_b64 exec, exec, s[20:21]
	s_orn2_b64 s[6:7], s[18:19], exec
.LBB3_167:
	s_or_b64 exec, exec, s[8:9]
	s_andn2_b64 s[8:9], s[14:15], exec
	s_and_b64 s[6:7], s[6:7], exec
	s_or_b64 s[14:15], s[8:9], s[6:7]
.LBB3_168:
	s_or_b64 exec, exec, s[16:17]
	s_xor_b64 s[6:7], s[14:15], -1
                                        ; implicit-def: $vgpr14_vgpr15
	s_and_saveexec_b64 s[8:9], s[6:7]
	s_xor_b64 s[6:7], exec, s[8:9]
	s_cbranch_execz .LBB3_170
; %bb.169:
	v_lshl_add_u32 v14, v26, 3, v20
	ds_read_b64 v[14:15], v14 offset:8
.LBB3_170:
	s_or_saveexec_b64 s[6:7], s[6:7]
	s_waitcnt lgkmcnt(0)
	v_pk_mov_b32 v[16:17], v[12:13], v[12:13] op_sel:[0,1]
	s_xor_b64 exec, exec, s[6:7]
	s_cbranch_execz .LBB3_172
; %bb.171:
	v_lshl_add_u32 v14, v25, 3, v20
	ds_read_b64 v[16:17], v14 offset:8
	v_pk_mov_b32 v[14:15], v[10:11], v[10:11] op_sel:[0,1]
.LBB3_172:
	s_or_b64 exec, exec, s[6:7]
	v_add_u32_e32 v27, 1, v25
	v_cndmask_b32_e64 v25, v25, v27, s[14:15]
	v_cmp_lt_i32_e64 s[6:7], v25, v24
	s_mov_b64 s[8:9], 0
	s_and_saveexec_b64 s[16:17], s[6:7]
	s_cbranch_execz .LBB3_178
; %bb.173:
	v_add_u32_e32 v24, 1, v26
	v_cndmask_b32_e64 v24, v24, v26, s[14:15]
	v_cmp_lt_i32_e64 s[6:7], v24, v23
	s_waitcnt lgkmcnt(0)
	v_cmp_nlt_f32_e64 s[8:9], v16, v14
	s_and_b64 s[18:19], s[6:7], s[8:9]
	s_mov_b64 s[6:7], -1
	s_and_saveexec_b64 s[8:9], s[18:19]
	s_cbranch_execz .LBB3_177
; %bb.174:
	v_cmp_eq_f32_e64 s[6:7], v16, v14
	s_mov_b64 s[18:19], 0
	s_and_saveexec_b64 s[20:21], s[6:7]
; %bb.175:
	v_cmp_lt_f32_e64 s[6:7], v17, v15
	s_and_b64 s[18:19], s[6:7], exec
; %bb.176:
	s_or_b64 exec, exec, s[20:21]
	s_orn2_b64 s[6:7], s[18:19], exec
.LBB3_177:
	s_or_b64 exec, exec, s[8:9]
	s_and_b64 s[8:9], s[6:7], exec
.LBB3_178:
	s_or_b64 exec, exec, s[16:17]
	v_cndmask_b32_e64 v7, v7, v9, s[12:13]
	v_cndmask_b32_e64 v6, v6, v8, s[12:13]
	;; [unrolled: 1-line block ×6, first 2 shown]
	s_waitcnt lgkmcnt(0)
	v_cndmask_b32_e64 v5, v15, v17, s[8:9]
	v_cndmask_b32_e64 v4, v14, v16, s[8:9]
	; wave barrier
	ds_write2_b64 v21, v[2:3], v[6:7] offset1:1
	ds_write2_b64 v21, v[10:11], v[4:5] offset0:2 offset1:3
	v_and_b32_e32 v3, 64, v22
	v_min_i32_e32 v6, v18, v3
	v_add_u32_e32 v3, 32, v6
	v_and_b32_e32 v2, 60, v22
	v_min_i32_e32 v22, v18, v3
	v_add_u32_e32 v3, 32, v22
	v_min_i32_e32 v23, v18, v3
	v_min_i32_e32 v2, v18, v2
	v_sub_u32_e32 v5, v23, v22
	v_sub_u32_e32 v4, v22, v6
	;; [unrolled: 1-line block ×3, first 2 shown]
	v_cmp_ge_i32_e64 s[6:7], v2, v5
	v_cndmask_b32_e64 v7, 0, v7, s[6:7]
	v_min_i32_e32 v4, v2, v4
	v_lshl_add_u32 v3, v6, 3, v20
	v_cmp_lt_i32_e64 s[6:7], v7, v4
	; wave barrier
	s_and_saveexec_b64 s[8:9], s[6:7]
	s_cbranch_execz .LBB3_186
; %bb.179:
	v_lshlrev_b32_e32 v5, 3, v22
	v_lshlrev_b32_e32 v8, 3, v2
	v_add3_u32 v5, v20, v5, v8
	s_mov_b64 s[10:11], 0
                                        ; implicit-def: $sgpr12_sgpr13
	s_branch .LBB3_182
.LBB3_180:                              ;   in Loop: Header=BB3_182 Depth=1
	s_or_b64 exec, exec, s[18:19]
	s_andn2_b64 s[6:7], s[12:13], exec
	s_and_b64 s[12:13], s[16:17], exec
	s_or_b64 s[12:13], s[6:7], s[12:13]
.LBB3_181:                              ;   in Loop: Header=BB3_182 Depth=1
	s_or_b64 exec, exec, s[14:15]
	v_add_u32_e32 v9, 1, v8
	v_cndmask_b32_e64 v4, v4, v8, s[12:13]
	v_cndmask_b32_e64 v7, v9, v7, s[12:13]
	v_cmp_ge_i32_e64 s[6:7], v7, v4
	s_or_b64 s[10:11], s[6:7], s[10:11]
	s_andn2_b64 exec, exec, s[10:11]
	s_cbranch_execz .LBB3_185
.LBB3_182:                              ; =>This Inner Loop Header: Depth=1
	v_sub_u32_e32 v8, v4, v7
	v_lshrrev_b32_e32 v9, 31, v8
	v_add_u32_e32 v8, v8, v9
	v_ashrrev_i32_e32 v8, 1, v8
	v_add_u32_e32 v8, v8, v7
	v_lshl_add_u32 v9, v8, 3, v3
	v_not_b32_e32 v10, v8
	v_lshl_add_u32 v10, v10, 3, v5
	ds_read_b32 v11, v9
	ds_read_b32 v12, v10
	s_or_b64 s[12:13], s[12:13], exec
	s_waitcnt lgkmcnt(0)
	v_cmp_nlt_f32_e64 s[6:7], v12, v11
	s_and_saveexec_b64 s[14:15], s[6:7]
	s_cbranch_execz .LBB3_181
; %bb.183:                              ;   in Loop: Header=BB3_182 Depth=1
	v_cmp_eq_f32_e64 s[6:7], v12, v11
	s_mov_b64 s[16:17], 0
	s_and_saveexec_b64 s[18:19], s[6:7]
	s_cbranch_execz .LBB3_180
; %bb.184:                              ;   in Loop: Header=BB3_182 Depth=1
	ds_read_b32 v10, v10 offset:4
	ds_read_b32 v9, v9 offset:4
	s_waitcnt lgkmcnt(0)
	v_cmp_lt_f32_e64 s[6:7], v10, v9
	s_and_b64 s[16:17], s[6:7], exec
	s_branch .LBB3_180
.LBB3_185:
	s_or_b64 exec, exec, s[10:11]
.LBB3_186:
	s_or_b64 exec, exec, s[8:9]
	v_add_u32_e32 v2, v22, v2
	v_sub_u32_e32 v10, v2, v7
	v_lshl_add_u32 v8, v7, 3, v3
	v_lshl_add_u32 v11, v10, 3, v20
	ds_read_b64 v[2:3], v8
	ds_read_b64 v[4:5], v11
	v_cmp_le_i32_e64 s[6:7], v23, v10
                                        ; implicit-def: $sgpr10_sgpr11
	s_and_saveexec_b64 s[8:9], s[6:7]
	s_xor_b64 s[6:7], exec, s[8:9]
; %bb.187:
	s_mov_b64 s[10:11], 0
; %bb.188:
	s_or_saveexec_b64 s[12:13], s[6:7]
	v_add_u32_e32 v12, v7, v6
	s_xor_b64 exec, exec, s[12:13]
	s_cbranch_execz .LBB3_194
; %bb.189:
	v_cmp_gt_i32_e64 s[6:7], v22, v12
	s_waitcnt lgkmcnt(0)
	v_cmp_nlt_f32_e64 s[8:9], v4, v2
	s_and_b64 s[14:15], s[6:7], s[8:9]
	s_mov_b64 s[6:7], -1
	s_and_saveexec_b64 s[8:9], s[14:15]
	s_cbranch_execz .LBB3_193
; %bb.190:
	v_cmp_eq_f32_e64 s[6:7], v4, v2
	s_mov_b64 s[14:15], 0
	s_and_saveexec_b64 s[16:17], s[6:7]
; %bb.191:
	v_cmp_lt_f32_e64 s[6:7], v5, v3
	s_and_b64 s[14:15], s[6:7], exec
; %bb.192:
	s_or_b64 exec, exec, s[16:17]
	s_orn2_b64 s[6:7], s[14:15], exec
.LBB3_193:
	s_or_b64 exec, exec, s[8:9]
	s_andn2_b64 s[8:9], s[10:11], exec
	s_and_b64 s[6:7], s[6:7], exec
	s_or_b64 s[10:11], s[8:9], s[6:7]
.LBB3_194:
	s_or_b64 exec, exec, s[12:13]
	s_xor_b64 s[6:7], s[10:11], -1
                                        ; implicit-def: $vgpr6_vgpr7
	s_and_saveexec_b64 s[8:9], s[6:7]
	s_xor_b64 s[6:7], exec, s[8:9]
	s_cbranch_execz .LBB3_196
; %bb.195:
	ds_read_b64 v[6:7], v8 offset:8
                                        ; implicit-def: $vgpr11
.LBB3_196:
	s_or_saveexec_b64 s[6:7], s[6:7]
	s_waitcnt lgkmcnt(0)
	v_pk_mov_b32 v[8:9], v[4:5], v[4:5] op_sel:[0,1]
	s_xor_b64 exec, exec, s[6:7]
	s_cbranch_execz .LBB3_198
; %bb.197:
	ds_read_b64 v[8:9], v11 offset:8
	v_pk_mov_b32 v[6:7], v[2:3], v[2:3] op_sel:[0,1]
.LBB3_198:
	s_or_b64 exec, exec, s[6:7]
	v_add_u32_e32 v11, 1, v10
	v_add_u32_e32 v13, 1, v12
	v_cndmask_b32_e64 v15, v10, v11, s[10:11]
	v_cndmask_b32_e64 v14, v13, v12, s[10:11]
	v_cmp_lt_i32_e64 s[6:7], v15, v23
	s_mov_b64 s[12:13], 0
	s_and_saveexec_b64 s[14:15], s[6:7]
	s_cbranch_execz .LBB3_204
; %bb.199:
	v_cmp_lt_i32_e64 s[6:7], v14, v22
	s_waitcnt lgkmcnt(0)
	v_cmp_nlt_f32_e64 s[8:9], v8, v6
	s_and_b64 s[12:13], s[6:7], s[8:9]
	s_mov_b64 s[6:7], -1
	s_and_saveexec_b64 s[8:9], s[12:13]
	s_cbranch_execz .LBB3_203
; %bb.200:
	v_cmp_eq_f32_e64 s[6:7], v8, v6
	s_mov_b64 s[12:13], 0
	s_and_saveexec_b64 s[16:17], s[6:7]
; %bb.201:
	v_cmp_lt_f32_e64 s[6:7], v9, v7
	s_and_b64 s[12:13], s[6:7], exec
; %bb.202:
	s_or_b64 exec, exec, s[16:17]
	s_orn2_b64 s[6:7], s[12:13], exec
.LBB3_203:
	s_or_b64 exec, exec, s[8:9]
	s_and_b64 s[12:13], s[6:7], exec
.LBB3_204:
	s_or_b64 exec, exec, s[14:15]
	s_xor_b64 s[6:7], s[12:13], -1
                                        ; implicit-def: $vgpr10_vgpr11
	s_and_saveexec_b64 s[8:9], s[6:7]
	s_xor_b64 s[6:7], exec, s[8:9]
	s_cbranch_execz .LBB3_206
; %bb.205:
	v_lshl_add_u32 v10, v14, 3, v20
	ds_read_b64 v[10:11], v10 offset:8
.LBB3_206:
	s_or_saveexec_b64 s[6:7], s[6:7]
	s_waitcnt lgkmcnt(0)
	v_pk_mov_b32 v[12:13], v[8:9], v[8:9] op_sel:[0,1]
	s_xor_b64 exec, exec, s[6:7]
	s_cbranch_execz .LBB3_208
; %bb.207:
	v_lshl_add_u32 v10, v15, 3, v20
	ds_read_b64 v[12:13], v10 offset:8
	v_pk_mov_b32 v[10:11], v[6:7], v[6:7] op_sel:[0,1]
.LBB3_208:
	s_or_b64 exec, exec, s[6:7]
	v_add_u32_e32 v17, 1, v15
	v_cndmask_b32_e64 v24, v15, v17, s[12:13]
	v_add_u32_e32 v16, 1, v14
	v_cmp_ge_i32_e64 s[6:7], v24, v23
                                        ; implicit-def: $sgpr14_sgpr15
	s_and_saveexec_b64 s[8:9], s[6:7]
	s_xor_b64 s[6:7], exec, s[8:9]
; %bb.209:
	s_mov_b64 s[14:15], 0
; %bb.210:
	s_or_saveexec_b64 s[16:17], s[6:7]
	v_cndmask_b32_e64 v25, v16, v14, s[12:13]
	s_xor_b64 exec, exec, s[16:17]
	s_cbranch_execz .LBB3_216
; %bb.211:
	v_cmp_lt_i32_e64 s[6:7], v25, v22
	s_waitcnt lgkmcnt(0)
	v_cmp_nlt_f32_e64 s[8:9], v12, v10
	s_and_b64 s[18:19], s[6:7], s[8:9]
	s_mov_b64 s[6:7], -1
	s_and_saveexec_b64 s[8:9], s[18:19]
	s_cbranch_execz .LBB3_215
; %bb.212:
	v_cmp_eq_f32_e64 s[6:7], v12, v10
	s_mov_b64 s[18:19], 0
	s_and_saveexec_b64 s[20:21], s[6:7]
; %bb.213:
	v_cmp_lt_f32_e64 s[6:7], v13, v11
	s_and_b64 s[18:19], s[6:7], exec
; %bb.214:
	s_or_b64 exec, exec, s[20:21]
	s_orn2_b64 s[6:7], s[18:19], exec
.LBB3_215:
	s_or_b64 exec, exec, s[8:9]
	s_andn2_b64 s[8:9], s[14:15], exec
	s_and_b64 s[6:7], s[6:7], exec
	s_or_b64 s[14:15], s[8:9], s[6:7]
.LBB3_216:
	s_or_b64 exec, exec, s[16:17]
	s_xor_b64 s[6:7], s[14:15], -1
                                        ; implicit-def: $vgpr14_vgpr15
	s_and_saveexec_b64 s[8:9], s[6:7]
	s_xor_b64 s[6:7], exec, s[8:9]
	s_cbranch_execz .LBB3_218
; %bb.217:
	v_lshl_add_u32 v14, v25, 3, v20
	ds_read_b64 v[14:15], v14 offset:8
.LBB3_218:
	s_or_saveexec_b64 s[6:7], s[6:7]
	s_waitcnt lgkmcnt(0)
	v_pk_mov_b32 v[16:17], v[12:13], v[12:13] op_sel:[0,1]
	s_xor_b64 exec, exec, s[6:7]
	s_cbranch_execz .LBB3_220
; %bb.219:
	v_lshl_add_u32 v14, v24, 3, v20
	ds_read_b64 v[16:17], v14 offset:8
	v_pk_mov_b32 v[14:15], v[10:11], v[10:11] op_sel:[0,1]
.LBB3_220:
	s_or_b64 exec, exec, s[6:7]
	v_add_u32_e32 v26, 1, v24
	v_cndmask_b32_e64 v24, v24, v26, s[14:15]
	v_cmp_lt_i32_e64 s[6:7], v24, v23
	s_mov_b64 s[8:9], 0
	s_and_saveexec_b64 s[16:17], s[6:7]
	s_cbranch_execz .LBB3_226
; %bb.221:
	v_add_u32_e32 v23, 1, v25
	v_cndmask_b32_e64 v23, v23, v25, s[14:15]
	v_cmp_lt_i32_e64 s[6:7], v23, v22
	s_waitcnt lgkmcnt(0)
	v_cmp_nlt_f32_e64 s[8:9], v16, v14
	s_and_b64 s[18:19], s[6:7], s[8:9]
	s_mov_b64 s[6:7], -1
	s_and_saveexec_b64 s[8:9], s[18:19]
	s_cbranch_execz .LBB3_225
; %bb.222:
	v_cmp_eq_f32_e64 s[6:7], v16, v14
	s_mov_b64 s[18:19], 0
	s_and_saveexec_b64 s[20:21], s[6:7]
; %bb.223:
	v_cmp_lt_f32_e64 s[6:7], v17, v15
	s_and_b64 s[18:19], s[6:7], exec
; %bb.224:
	s_or_b64 exec, exec, s[20:21]
	s_orn2_b64 s[6:7], s[18:19], exec
.LBB3_225:
	s_or_b64 exec, exec, s[8:9]
	s_and_b64 s[8:9], s[6:7], exec
.LBB3_226:
	s_or_b64 exec, exec, s[16:17]
	v_cndmask_b32_e64 v7, v7, v9, s[12:13]
	v_cndmask_b32_e64 v6, v6, v8, s[12:13]
	;; [unrolled: 1-line block ×6, first 2 shown]
	s_waitcnt lgkmcnt(0)
	v_cndmask_b32_e64 v5, v15, v17, s[8:9]
	v_cndmask_b32_e64 v4, v14, v16, s[8:9]
	; wave barrier
	ds_write2_b64 v21, v[2:3], v[6:7] offset1:1
	ds_write2_b64 v21, v[10:11], v[4:5] offset0:2 offset1:3
	v_min_i32_e32 v6, 0, v18
	v_add_u32_e32 v3, 64, v6
	v_min_i32_e32 v2, v18, v19
	v_min_i32_e32 v19, v18, v3
	v_add_u32_e32 v3, 64, v19
	v_min_i32_e32 v18, v18, v3
	v_sub_u32_e32 v5, v18, v19
	v_sub_u32_e32 v4, v19, v6
	;; [unrolled: 1-line block ×3, first 2 shown]
	v_cmp_ge_i32_e64 s[6:7], v2, v5
	v_cndmask_b32_e64 v7, 0, v7, s[6:7]
	v_min_i32_e32 v4, v2, v4
	v_lshl_add_u32 v3, v6, 3, v20
	v_cmp_lt_i32_e64 s[6:7], v7, v4
	; wave barrier
	s_and_saveexec_b64 s[8:9], s[6:7]
	s_cbranch_execz .LBB3_234
; %bb.227:
	v_lshlrev_b32_e32 v5, 3, v19
	v_lshlrev_b32_e32 v8, 3, v2
	v_add3_u32 v5, v20, v5, v8
	s_mov_b64 s[10:11], 0
                                        ; implicit-def: $sgpr12_sgpr13
	s_branch .LBB3_230
.LBB3_228:                              ;   in Loop: Header=BB3_230 Depth=1
	s_or_b64 exec, exec, s[18:19]
	s_andn2_b64 s[6:7], s[12:13], exec
	s_and_b64 s[12:13], s[16:17], exec
	s_or_b64 s[12:13], s[6:7], s[12:13]
.LBB3_229:                              ;   in Loop: Header=BB3_230 Depth=1
	s_or_b64 exec, exec, s[14:15]
	v_add_u32_e32 v9, 1, v8
	v_cndmask_b32_e64 v4, v4, v8, s[12:13]
	v_cndmask_b32_e64 v7, v9, v7, s[12:13]
	v_cmp_ge_i32_e64 s[6:7], v7, v4
	s_or_b64 s[10:11], s[6:7], s[10:11]
	s_andn2_b64 exec, exec, s[10:11]
	s_cbranch_execz .LBB3_233
.LBB3_230:                              ; =>This Inner Loop Header: Depth=1
	v_sub_u32_e32 v8, v4, v7
	v_lshrrev_b32_e32 v9, 31, v8
	v_add_u32_e32 v8, v8, v9
	v_ashrrev_i32_e32 v8, 1, v8
	v_add_u32_e32 v8, v8, v7
	v_lshl_add_u32 v9, v8, 3, v3
	v_not_b32_e32 v10, v8
	v_lshl_add_u32 v10, v10, 3, v5
	ds_read_b32 v11, v9
	ds_read_b32 v12, v10
	s_or_b64 s[12:13], s[12:13], exec
	s_waitcnt lgkmcnt(0)
	v_cmp_nlt_f32_e64 s[6:7], v12, v11
	s_and_saveexec_b64 s[14:15], s[6:7]
	s_cbranch_execz .LBB3_229
; %bb.231:                              ;   in Loop: Header=BB3_230 Depth=1
	v_cmp_eq_f32_e64 s[6:7], v12, v11
	s_mov_b64 s[16:17], 0
	s_and_saveexec_b64 s[18:19], s[6:7]
	s_cbranch_execz .LBB3_228
; %bb.232:                              ;   in Loop: Header=BB3_230 Depth=1
	ds_read_b32 v10, v10 offset:4
	ds_read_b32 v9, v9 offset:4
	s_waitcnt lgkmcnt(0)
	v_cmp_lt_f32_e64 s[6:7], v10, v9
	s_and_b64 s[16:17], s[6:7], exec
	s_branch .LBB3_228
.LBB3_233:
	s_or_b64 exec, exec, s[10:11]
.LBB3_234:
	s_or_b64 exec, exec, s[8:9]
	v_add_u32_e32 v2, v2, v19
	v_sub_u32_e32 v10, v2, v7
	v_lshl_add_u32 v8, v7, 3, v3
	v_lshl_add_u32 v12, v10, 3, v20
	ds_read_b64 v[2:3], v8
	ds_read_b64 v[4:5], v12
	v_cmp_le_i32_e64 s[6:7], v18, v10
                                        ; implicit-def: $sgpr10_sgpr11
	s_and_saveexec_b64 s[8:9], s[6:7]
	s_xor_b64 s[6:7], exec, s[8:9]
; %bb.235:
	s_mov_b64 s[10:11], 0
; %bb.236:
	s_or_saveexec_b64 s[12:13], s[6:7]
	v_add_u32_e32 v11, v7, v6
	s_xor_b64 exec, exec, s[12:13]
	s_cbranch_execz .LBB3_242
; %bb.237:
	v_cmp_gt_i32_e64 s[6:7], v19, v11
	s_waitcnt lgkmcnt(0)
	v_cmp_nlt_f32_e64 s[8:9], v4, v2
	s_and_b64 s[14:15], s[6:7], s[8:9]
	s_mov_b64 s[6:7], -1
	s_and_saveexec_b64 s[8:9], s[14:15]
	s_cbranch_execz .LBB3_241
; %bb.238:
	v_cmp_eq_f32_e64 s[6:7], v4, v2
	s_mov_b64 s[14:15], 0
	s_and_saveexec_b64 s[16:17], s[6:7]
; %bb.239:
	v_cmp_lt_f32_e64 s[6:7], v5, v3
	s_and_b64 s[14:15], s[6:7], exec
; %bb.240:
	s_or_b64 exec, exec, s[16:17]
	s_orn2_b64 s[6:7], s[14:15], exec
.LBB3_241:
	s_or_b64 exec, exec, s[8:9]
	s_andn2_b64 s[8:9], s[10:11], exec
	s_and_b64 s[6:7], s[6:7], exec
	s_or_b64 s[10:11], s[8:9], s[6:7]
.LBB3_242:
	s_or_b64 exec, exec, s[12:13]
	s_xor_b64 s[6:7], s[10:11], -1
                                        ; implicit-def: $vgpr6_vgpr7
	s_and_saveexec_b64 s[8:9], s[6:7]
	s_xor_b64 s[6:7], exec, s[8:9]
	s_cbranch_execz .LBB3_244
; %bb.243:
	ds_read_b64 v[6:7], v8 offset:8
                                        ; implicit-def: $vgpr12
.LBB3_244:
	s_or_saveexec_b64 s[6:7], s[6:7]
	s_waitcnt lgkmcnt(0)
	v_pk_mov_b32 v[8:9], v[4:5], v[4:5] op_sel:[0,1]
	s_xor_b64 exec, exec, s[6:7]
	s_cbranch_execz .LBB3_246
; %bb.245:
	ds_read_b64 v[8:9], v12 offset:8
	v_pk_mov_b32 v[6:7], v[2:3], v[2:3] op_sel:[0,1]
.LBB3_246:
	s_or_b64 exec, exec, s[6:7]
	v_add_u32_e32 v13, 1, v10
	v_cndmask_b32_e64 v14, v10, v13, s[10:11]
	v_add_u32_e32 v12, 1, v11
	v_cmp_ge_i32_e64 s[6:7], v14, v18
                                        ; implicit-def: $sgpr12_sgpr13
	s_and_saveexec_b64 s[8:9], s[6:7]
	s_xor_b64 s[6:7], exec, s[8:9]
; %bb.247:
	s_mov_b64 s[12:13], 0
; %bb.248:
	s_or_saveexec_b64 s[14:15], s[6:7]
	v_cndmask_b32_e64 v15, v12, v11, s[10:11]
	s_xor_b64 exec, exec, s[14:15]
	s_cbranch_execz .LBB3_254
; %bb.249:
	v_cmp_lt_i32_e64 s[6:7], v15, v19
	s_waitcnt lgkmcnt(0)
	v_cmp_nlt_f32_e64 s[8:9], v8, v6
	s_and_b64 s[16:17], s[6:7], s[8:9]
	s_mov_b64 s[6:7], -1
	s_and_saveexec_b64 s[8:9], s[16:17]
	s_cbranch_execz .LBB3_253
; %bb.250:
	v_cmp_eq_f32_e64 s[6:7], v8, v6
	s_mov_b64 s[16:17], 0
	s_and_saveexec_b64 s[18:19], s[6:7]
; %bb.251:
	v_cmp_lt_f32_e64 s[6:7], v9, v7
	s_and_b64 s[16:17], s[6:7], exec
; %bb.252:
	s_or_b64 exec, exec, s[18:19]
	s_orn2_b64 s[6:7], s[16:17], exec
.LBB3_253:
	s_or_b64 exec, exec, s[8:9]
	s_andn2_b64 s[8:9], s[12:13], exec
	s_and_b64 s[6:7], s[6:7], exec
	s_or_b64 s[12:13], s[8:9], s[6:7]
.LBB3_254:
	s_or_b64 exec, exec, s[14:15]
	s_xor_b64 s[6:7], s[12:13], -1
                                        ; implicit-def: $vgpr10_vgpr11
	s_and_saveexec_b64 s[8:9], s[6:7]
	s_xor_b64 s[6:7], exec, s[8:9]
	s_cbranch_execz .LBB3_256
; %bb.255:
	v_lshl_add_u32 v10, v15, 3, v20
	ds_read_b64 v[10:11], v10 offset:8
.LBB3_256:
	s_or_saveexec_b64 s[6:7], s[6:7]
	s_waitcnt lgkmcnt(0)
	v_pk_mov_b32 v[12:13], v[8:9], v[8:9] op_sel:[0,1]
	s_xor_b64 exec, exec, s[6:7]
	s_cbranch_execz .LBB3_258
; %bb.257:
	v_lshl_add_u32 v10, v14, 3, v20
	ds_read_b64 v[12:13], v10 offset:8
	v_pk_mov_b32 v[10:11], v[6:7], v[6:7] op_sel:[0,1]
.LBB3_258:
	s_or_b64 exec, exec, s[6:7]
	v_add_u32_e32 v17, 1, v14
	v_cndmask_b32_e64 v21, v14, v17, s[12:13]
	v_add_u32_e32 v16, 1, v15
	v_cmp_ge_i32_e64 s[6:7], v21, v18
                                        ; implicit-def: $sgpr14_sgpr15
	s_and_saveexec_b64 s[8:9], s[6:7]
	s_xor_b64 s[6:7], exec, s[8:9]
; %bb.259:
	s_mov_b64 s[14:15], 0
; %bb.260:
	s_or_saveexec_b64 s[16:17], s[6:7]
	v_cndmask_b32_e64 v22, v16, v15, s[12:13]
	s_xor_b64 exec, exec, s[16:17]
	s_cbranch_execz .LBB3_266
; %bb.261:
	v_cmp_lt_i32_e64 s[6:7], v22, v19
	s_waitcnt lgkmcnt(0)
	v_cmp_nlt_f32_e64 s[8:9], v12, v10
	s_and_b64 s[18:19], s[6:7], s[8:9]
	s_mov_b64 s[6:7], -1
	s_and_saveexec_b64 s[8:9], s[18:19]
	s_cbranch_execz .LBB3_265
; %bb.262:
	v_cmp_eq_f32_e64 s[6:7], v12, v10
	s_mov_b64 s[18:19], 0
	s_and_saveexec_b64 s[20:21], s[6:7]
; %bb.263:
	v_cmp_lt_f32_e64 s[6:7], v13, v11
	s_and_b64 s[18:19], s[6:7], exec
; %bb.264:
	s_or_b64 exec, exec, s[20:21]
	s_orn2_b64 s[6:7], s[18:19], exec
.LBB3_265:
	s_or_b64 exec, exec, s[8:9]
	s_andn2_b64 s[8:9], s[14:15], exec
	s_and_b64 s[6:7], s[6:7], exec
	s_or_b64 s[14:15], s[8:9], s[6:7]
.LBB3_266:
	s_or_b64 exec, exec, s[16:17]
	s_xor_b64 s[6:7], s[14:15], -1
                                        ; implicit-def: $vgpr14_vgpr15
	s_and_saveexec_b64 s[8:9], s[6:7]
	s_xor_b64 s[6:7], exec, s[8:9]
	s_cbranch_execz .LBB3_268
; %bb.267:
	v_lshl_add_u32 v14, v22, 3, v20
	ds_read_b64 v[14:15], v14 offset:8
                                        ; implicit-def: $vgpr20
.LBB3_268:
	s_or_saveexec_b64 s[6:7], s[6:7]
	s_waitcnt lgkmcnt(0)
	v_pk_mov_b32 v[16:17], v[12:13], v[12:13] op_sel:[0,1]
	s_xor_b64 exec, exec, s[6:7]
	s_cbranch_execz .LBB3_270
; %bb.269:
	v_lshl_add_u32 v14, v21, 3, v20
	ds_read_b64 v[16:17], v14 offset:8
	v_pk_mov_b32 v[14:15], v[10:11], v[10:11] op_sel:[0,1]
.LBB3_270:
	s_or_b64 exec, exec, s[6:7]
	v_add_u32_e32 v20, 1, v21
	v_cndmask_b32_e64 v20, v21, v20, s[14:15]
	v_cmp_lt_i32_e64 s[6:7], v20, v18
	s_mov_b64 s[8:9], 0
	s_and_saveexec_b64 s[16:17], s[6:7]
	s_cbranch_execnz .LBB3_276
; %bb.271:
	s_or_b64 exec, exec, s[16:17]
	s_and_saveexec_b64 s[6:7], vcc
	s_cbranch_execnz .LBB3_281
.LBB3_272:
	s_or_b64 exec, exec, s[6:7]
	s_and_saveexec_b64 s[6:7], s[0:1]
	s_cbranch_execnz .LBB3_282
.LBB3_273:
	s_or_b64 exec, exec, s[6:7]
	s_and_saveexec_b64 s[0:1], s[2:3]
	s_cbranch_execnz .LBB3_283
.LBB3_274:
	s_or_b64 exec, exec, s[0:1]
	s_and_saveexec_b64 s[0:1], s[4:5]
	s_cbranch_execnz .LBB3_284
.LBB3_275:
	s_endpgm
.LBB3_276:
	v_add_u32_e32 v18, 1, v22
	v_cndmask_b32_e64 v18, v18, v22, s[14:15]
	v_cmp_lt_i32_e64 s[6:7], v18, v19
	s_waitcnt lgkmcnt(0)
	v_cmp_nlt_f32_e64 s[8:9], v16, v14
	s_and_b64 s[18:19], s[6:7], s[8:9]
	s_mov_b64 s[6:7], -1
	s_and_saveexec_b64 s[8:9], s[18:19]
	s_cbranch_execz .LBB3_280
; %bb.277:
	v_cmp_eq_f32_e64 s[6:7], v16, v14
	s_mov_b64 s[18:19], 0
	s_and_saveexec_b64 s[20:21], s[6:7]
; %bb.278:
	v_cmp_lt_f32_e64 s[6:7], v17, v15
	s_and_b64 s[18:19], s[6:7], exec
; %bb.279:
	s_or_b64 exec, exec, s[20:21]
	s_orn2_b64 s[6:7], s[18:19], exec
.LBB3_280:
	s_or_b64 exec, exec, s[8:9]
	s_and_b64 s[8:9], s[6:7], exec
	s_or_b64 exec, exec, s[16:17]
	s_and_saveexec_b64 s[6:7], vcc
	s_cbranch_execz .LBB3_272
.LBB3_281:
	v_cndmask_b32_e64 v2, v2, v4, s[10:11]
	v_cndmask_b32_e64 v3, v3, v5, s[10:11]
	global_store_dwordx2 v[0:1], v[2:3], off
	s_or_b64 exec, exec, s[6:7]
	s_and_saveexec_b64 s[6:7], s[0:1]
	s_cbranch_execz .LBB3_273
.LBB3_282:
	v_cndmask_b32_e64 v2, v6, v8, s[12:13]
	v_cndmask_b32_e64 v3, v7, v9, s[12:13]
	global_store_dwordx2 v[0:1], v[2:3], off offset:8
	s_or_b64 exec, exec, s[6:7]
	s_and_saveexec_b64 s[0:1], s[2:3]
	s_cbranch_execz .LBB3_274
.LBB3_283:
	v_cndmask_b32_e64 v2, v10, v12, s[14:15]
	v_cndmask_b32_e64 v3, v11, v13, s[14:15]
	global_store_dwordx2 v[0:1], v[2:3], off offset:16
	s_or_b64 exec, exec, s[0:1]
	s_and_saveexec_b64 s[0:1], s[4:5]
	s_cbranch_execz .LBB3_275
.LBB3_284:
	s_waitcnt lgkmcnt(0)
	v_cndmask_b32_e64 v3, v15, v17, s[8:9]
	v_cndmask_b32_e64 v2, v14, v16, s[8:9]
	global_store_dwordx2 v[0:1], v[2:3], off offset:24
	s_endpgm
	.section	.rodata,"a",@progbits
	.p2align	6, 0x0
	.amdhsa_kernel _Z19sort_keys_segmentedILj256ELj32ELj4ELb0EN10test_utils16custom_test_typeIfEENS0_4lessEEvPT3_PKjT4_
		.amdhsa_group_segment_fixed_size 8256
		.amdhsa_private_segment_fixed_size 0
		.amdhsa_kernarg_size 20
		.amdhsa_user_sgpr_count 6
		.amdhsa_user_sgpr_private_segment_buffer 1
		.amdhsa_user_sgpr_dispatch_ptr 0
		.amdhsa_user_sgpr_queue_ptr 0
		.amdhsa_user_sgpr_kernarg_segment_ptr 1
		.amdhsa_user_sgpr_dispatch_id 0
		.amdhsa_user_sgpr_flat_scratch_init 0
		.amdhsa_user_sgpr_kernarg_preload_length 0
		.amdhsa_user_sgpr_kernarg_preload_offset 0
		.amdhsa_user_sgpr_private_segment_size 0
		.amdhsa_uses_dynamic_stack 0
		.amdhsa_system_sgpr_private_segment_wavefront_offset 0
		.amdhsa_system_sgpr_workgroup_id_x 1
		.amdhsa_system_sgpr_workgroup_id_y 0
		.amdhsa_system_sgpr_workgroup_id_z 0
		.amdhsa_system_sgpr_workgroup_info 0
		.amdhsa_system_vgpr_workitem_id 0
		.amdhsa_next_free_vgpr 28
		.amdhsa_next_free_sgpr 22
		.amdhsa_accum_offset 28
		.amdhsa_reserve_vcc 1
		.amdhsa_reserve_flat_scratch 0
		.amdhsa_float_round_mode_32 0
		.amdhsa_float_round_mode_16_64 0
		.amdhsa_float_denorm_mode_32 3
		.amdhsa_float_denorm_mode_16_64 3
		.amdhsa_dx10_clamp 1
		.amdhsa_ieee_mode 1
		.amdhsa_fp16_overflow 0
		.amdhsa_tg_split 0
		.amdhsa_exception_fp_ieee_invalid_op 0
		.amdhsa_exception_fp_denorm_src 0
		.amdhsa_exception_fp_ieee_div_zero 0
		.amdhsa_exception_fp_ieee_overflow 0
		.amdhsa_exception_fp_ieee_underflow 0
		.amdhsa_exception_fp_ieee_inexact 0
		.amdhsa_exception_int_div_zero 0
	.end_amdhsa_kernel
	.section	.text._Z19sort_keys_segmentedILj256ELj32ELj4ELb0EN10test_utils16custom_test_typeIfEENS0_4lessEEvPT3_PKjT4_,"axG",@progbits,_Z19sort_keys_segmentedILj256ELj32ELj4ELb0EN10test_utils16custom_test_typeIfEENS0_4lessEEvPT3_PKjT4_,comdat
.Lfunc_end3:
	.size	_Z19sort_keys_segmentedILj256ELj32ELj4ELb0EN10test_utils16custom_test_typeIfEENS0_4lessEEvPT3_PKjT4_, .Lfunc_end3-_Z19sort_keys_segmentedILj256ELj32ELj4ELb0EN10test_utils16custom_test_typeIfEENS0_4lessEEvPT3_PKjT4_
                                        ; -- End function
	.section	.AMDGPU.csdata,"",@progbits
; Kernel info:
; codeLenInByte = 7304
; NumSgprs: 26
; NumVgprs: 28
; NumAgprs: 0
; TotalNumVgprs: 28
; ScratchSize: 0
; MemoryBound: 0
; FloatMode: 240
; IeeeMode: 1
; LDSByteSize: 8256 bytes/workgroup (compile time only)
; SGPRBlocks: 3
; VGPRBlocks: 3
; NumSGPRsForWavesPerEU: 26
; NumVGPRsForWavesPerEU: 28
; AccumOffset: 28
; Occupancy: 7
; WaveLimiterHint : 0
; COMPUTE_PGM_RSRC2:SCRATCH_EN: 0
; COMPUTE_PGM_RSRC2:USER_SGPR: 6
; COMPUTE_PGM_RSRC2:TRAP_HANDLER: 0
; COMPUTE_PGM_RSRC2:TGID_X_EN: 1
; COMPUTE_PGM_RSRC2:TGID_Y_EN: 0
; COMPUTE_PGM_RSRC2:TGID_Z_EN: 0
; COMPUTE_PGM_RSRC2:TIDIG_COMP_CNT: 0
; COMPUTE_PGM_RSRC3_GFX90A:ACCUM_OFFSET: 6
; COMPUTE_PGM_RSRC3_GFX90A:TG_SPLIT: 0
	.section	.text._Z19sort_keys_segmentedILj256ELj32ELj2ELb0EN10test_utils16custom_test_typeIfEENS0_4lessEEvPT3_PKjT4_,"axG",@progbits,_Z19sort_keys_segmentedILj256ELj32ELj2ELb0EN10test_utils16custom_test_typeIfEENS0_4lessEEvPT3_PKjT4_,comdat
	.protected	_Z19sort_keys_segmentedILj256ELj32ELj2ELb0EN10test_utils16custom_test_typeIfEENS0_4lessEEvPT3_PKjT4_ ; -- Begin function _Z19sort_keys_segmentedILj256ELj32ELj2ELb0EN10test_utils16custom_test_typeIfEENS0_4lessEEvPT3_PKjT4_
	.globl	_Z19sort_keys_segmentedILj256ELj32ELj2ELb0EN10test_utils16custom_test_typeIfEENS0_4lessEEvPT3_PKjT4_
	.p2align	8
	.type	_Z19sort_keys_segmentedILj256ELj32ELj2ELb0EN10test_utils16custom_test_typeIfEENS0_4lessEEvPT3_PKjT4_,@function
_Z19sort_keys_segmentedILj256ELj32ELj2ELb0EN10test_utils16custom_test_typeIfEENS0_4lessEEvPT3_PKjT4_: ; @_Z19sort_keys_segmentedILj256ELj32ELj2ELb0EN10test_utils16custom_test_typeIfEENS0_4lessEEvPT3_PKjT4_
; %bb.0:
	s_load_dwordx4 s[0:3], s[4:5], 0x0
	v_lshrrev_b32_e32 v8, 5, v0
	v_lshl_or_b32 v4, s6, 3, v8
	v_mov_b32_e32 v5, 0
	v_lshlrev_b64 v[0:1], 2, v[4:5]
	s_waitcnt lgkmcnt(0)
	v_mov_b32_e32 v2, s3
	v_add_co_u32_e32 v0, vcc, s2, v0
	v_addc_co_u32_e32 v1, vcc, v2, v1, vcc
	global_load_dword v10, v[0:1], off
	v_mbcnt_lo_u32_b32 v0, -1, 0
	v_mbcnt_hi_u32_b32 v0, -1, v0
	v_lshlrev_b32_e32 v4, 6, v4
	v_lshlrev_b32_e32 v14, 1, v0
	v_lshlrev_b64 v[0:1], 3, v[4:5]
	v_and_b32_e32 v12, 62, v14
	v_mov_b32_e32 v3, s1
	v_add_co_u32_e32 v0, vcc, s0, v0
	v_lshlrev_b32_e32 v4, 3, v12
	v_addc_co_u32_e32 v1, vcc, v3, v1, vcc
	v_add_co_u32_e32 v0, vcc, v0, v4
	v_addc_co_u32_e32 v1, vcc, 0, v1, vcc
	v_mov_b32_e32 v2, 0
	v_mov_b32_e32 v3, 0
	s_waitcnt vmcnt(0)
	v_cmp_lt_u32_e32 vcc, v12, v10
	s_and_saveexec_b64 s[0:1], vcc
	s_cbranch_execz .LBB4_2
; %bb.1:
	global_load_dwordx2 v[2:3], v[0:1], off
.LBB4_2:
	s_or_b64 exec, exec, s[0:1]
	v_or_b32_e32 v9, 1, v12
	v_cmp_lt_u32_e64 s[0:1], v9, v10
	v_mov_b32_e32 v7, 0
	s_and_saveexec_b64 s[2:3], s[0:1]
	s_cbranch_execz .LBB4_4
; %bb.3:
	global_load_dwordx2 v[6:7], v[0:1], off offset:8
	s_waitcnt vmcnt(0)
	v_mov_b32_e32 v5, v6
.LBB4_4:
	s_or_b64 exec, exec, s[2:3]
	s_getpc_b64 s[2:3]
	s_add_u32 s2, s2, _ZN9sort_lastIN10test_utils4lessENS0_16custom_test_typeIfEEE5valueE@rel32@lo+4
	s_addc_u32 s3, s3, _ZN9sort_lastIN10test_utils4lessENS0_16custom_test_typeIfEEE5valueE@rel32@hi+12
	s_load_dwordx2 s[2:3], s[2:3], 0x0
	s_waitcnt lgkmcnt(0)
	v_mov_b32_e32 v6, s3
	v_mov_b32_e32 v11, s2
	v_cmp_lt_i32_e64 s[2:3], v9, v10
	v_cndmask_b32_e64 v7, v6, v7, s[2:3]
	v_cndmask_b32_e64 v6, v11, v5, s[2:3]
	v_cmp_lt_i32_e64 s[2:3], v12, v10
	s_and_saveexec_b64 s[8:9], s[2:3]
	s_cbranch_execz .LBB4_8
; %bb.5:
	s_waitcnt vmcnt(0)
	v_cmp_eq_f32_e64 s[4:5], v6, v2
	v_cmp_lt_f32_e64 s[6:7], v7, v3
	v_cmp_lt_f32_e64 s[2:3], v6, v2
	s_and_b64 s[4:5], s[4:5], s[6:7]
	s_or_b64 s[4:5], s[2:3], s[4:5]
	v_mov_b32_e32 v5, v6
	v_mov_b32_e32 v9, v3
	s_and_saveexec_b64 s[2:3], s[4:5]
; %bb.6:
	v_mov_b32_e32 v5, v2
	v_mov_b32_e32 v9, v7
	;; [unrolled: 1-line block ×4, first 2 shown]
; %bb.7:
	s_or_b64 exec, exec, s[2:3]
	v_mov_b32_e32 v3, v9
	v_mov_b32_e32 v6, v5
.LBB4_8:
	s_or_b64 exec, exec, s[8:9]
	s_movk_i32 s2, 0x208
	v_mad_u32_u24 v13, v8, s2, v4
	; wave barrier
	s_waitcnt vmcnt(0)
	ds_write2_b64 v13, v[2:3], v[6:7] offset1:1
	v_and_b32_e32 v3, 60, v14
	v_min_i32_e32 v6, v10, v3
	v_add_u32_e32 v3, 2, v6
	v_min_i32_e32 v15, v10, v3
	v_add_u32_e32 v3, 2, v15
	v_and_b32_e32 v2, 2, v14
	v_min_i32_e32 v16, v10, v3
	v_min_i32_e32 v2, v10, v2
	v_sub_u32_e32 v5, v16, v15
	v_lshlrev_b32_e32 v3, 3, v6
	v_sub_u32_e32 v4, v15, v6
	v_mad_u32_u24 v3, v8, s2, v3
	v_sub_u32_e32 v7, v2, v5
	v_cmp_ge_i32_e64 s[2:3], v2, v5
	v_cndmask_b32_e64 v7, 0, v7, s[2:3]
	v_min_i32_e32 v4, v2, v4
	v_mul_u32_u24_e32 v11, 0x208, v8
	v_cmp_lt_i32_e64 s[2:3], v7, v4
	; wave barrier
	s_and_saveexec_b64 s[4:5], s[2:3]
	s_cbranch_execz .LBB4_16
; %bb.9:
	v_lshlrev_b32_e32 v5, 3, v15
	v_lshlrev_b32_e32 v8, 3, v2
	v_add3_u32 v5, v11, v5, v8
	s_mov_b64 s[6:7], 0
                                        ; implicit-def: $sgpr8_sgpr9
	s_branch .LBB4_12
.LBB4_10:                               ;   in Loop: Header=BB4_12 Depth=1
	s_or_b64 exec, exec, s[14:15]
	s_andn2_b64 s[2:3], s[8:9], exec
	s_and_b64 s[8:9], s[12:13], exec
	s_or_b64 s[8:9], s[2:3], s[8:9]
.LBB4_11:                               ;   in Loop: Header=BB4_12 Depth=1
	s_or_b64 exec, exec, s[10:11]
	v_add_u32_e32 v9, 1, v8
	v_cndmask_b32_e64 v4, v4, v8, s[8:9]
	v_cndmask_b32_e64 v7, v9, v7, s[8:9]
	v_cmp_ge_i32_e64 s[2:3], v7, v4
	s_or_b64 s[6:7], s[2:3], s[6:7]
	s_andn2_b64 exec, exec, s[6:7]
	s_cbranch_execz .LBB4_15
.LBB4_12:                               ; =>This Inner Loop Header: Depth=1
	v_sub_u32_e32 v8, v4, v7
	v_lshrrev_b32_e32 v9, 31, v8
	v_add_u32_e32 v8, v8, v9
	v_ashrrev_i32_e32 v8, 1, v8
	v_add_u32_e32 v8, v8, v7
	v_lshl_add_u32 v9, v8, 3, v3
	v_not_b32_e32 v17, v8
	v_lshl_add_u32 v17, v17, 3, v5
	ds_read_b32 v18, v9
	ds_read_b32 v19, v17
	s_or_b64 s[8:9], s[8:9], exec
	s_waitcnt lgkmcnt(0)
	v_cmp_nlt_f32_e64 s[2:3], v19, v18
	s_and_saveexec_b64 s[10:11], s[2:3]
	s_cbranch_execz .LBB4_11
; %bb.13:                               ;   in Loop: Header=BB4_12 Depth=1
	v_cmp_eq_f32_e64 s[2:3], v19, v18
	s_mov_b64 s[12:13], 0
	s_and_saveexec_b64 s[14:15], s[2:3]
	s_cbranch_execz .LBB4_10
; %bb.14:                               ;   in Loop: Header=BB4_12 Depth=1
	ds_read_b32 v17, v17 offset:4
	ds_read_b32 v9, v9 offset:4
	s_waitcnt lgkmcnt(0)
	v_cmp_lt_f32_e64 s[2:3], v17, v9
	s_and_b64 s[12:13], s[2:3], exec
	s_branch .LBB4_10
.LBB4_15:
	s_or_b64 exec, exec, s[6:7]
.LBB4_16:
	s_or_b64 exec, exec, s[4:5]
	v_add_u32_e32 v2, v15, v2
	v_sub_u32_e32 v17, v2, v7
	v_lshl_add_u32 v8, v7, 3, v3
	v_lshl_add_u32 v18, v17, 3, v11
	ds_read_b64 v[2:3], v8
	ds_read_b64 v[4:5], v18
	v_cmp_le_i32_e64 s[2:3], v16, v17
                                        ; implicit-def: $sgpr6_sgpr7
	s_and_saveexec_b64 s[4:5], s[2:3]
	s_xor_b64 s[2:3], exec, s[4:5]
; %bb.17:
	s_mov_b64 s[6:7], 0
; %bb.18:
	s_or_saveexec_b64 s[8:9], s[2:3]
	v_add_u32_e32 v19, v7, v6
	s_xor_b64 exec, exec, s[8:9]
	s_cbranch_execz .LBB4_24
; %bb.19:
	v_cmp_gt_i32_e64 s[2:3], v15, v19
	s_waitcnt lgkmcnt(0)
	v_cmp_nlt_f32_e64 s[4:5], v4, v2
	s_and_b64 s[10:11], s[2:3], s[4:5]
	s_mov_b64 s[2:3], -1
	s_and_saveexec_b64 s[4:5], s[10:11]
	s_cbranch_execz .LBB4_23
; %bb.20:
	v_cmp_eq_f32_e64 s[2:3], v4, v2
	s_mov_b64 s[10:11], 0
	s_and_saveexec_b64 s[12:13], s[2:3]
; %bb.21:
	v_cmp_lt_f32_e64 s[2:3], v5, v3
	s_and_b64 s[10:11], s[2:3], exec
; %bb.22:
	s_or_b64 exec, exec, s[12:13]
	s_orn2_b64 s[2:3], s[10:11], exec
.LBB4_23:
	s_or_b64 exec, exec, s[4:5]
	s_andn2_b64 s[4:5], s[6:7], exec
	s_and_b64 s[2:3], s[2:3], exec
	s_or_b64 s[6:7], s[4:5], s[2:3]
.LBB4_24:
	s_or_b64 exec, exec, s[8:9]
	s_xor_b64 s[2:3], s[6:7], -1
                                        ; implicit-def: $vgpr6_vgpr7
	s_and_saveexec_b64 s[4:5], s[2:3]
	s_xor_b64 s[2:3], exec, s[4:5]
	s_cbranch_execz .LBB4_26
; %bb.25:
	ds_read_b64 v[6:7], v8 offset:8
                                        ; implicit-def: $vgpr18
.LBB4_26:
	s_or_saveexec_b64 s[2:3], s[2:3]
	s_waitcnt lgkmcnt(0)
	v_pk_mov_b32 v[8:9], v[4:5], v[4:5] op_sel:[0,1]
	s_xor_b64 exec, exec, s[2:3]
	s_cbranch_execz .LBB4_28
; %bb.27:
	ds_read_b64 v[8:9], v18 offset:8
	v_pk_mov_b32 v[6:7], v[2:3], v[2:3] op_sel:[0,1]
.LBB4_28:
	s_or_b64 exec, exec, s[2:3]
	v_add_u32_e32 v18, 1, v17
	v_cndmask_b32_e64 v17, v17, v18, s[6:7]
	v_cmp_lt_i32_e64 s[2:3], v17, v16
	s_mov_b64 s[4:5], 0
	s_and_saveexec_b64 s[8:9], s[2:3]
	s_cbranch_execz .LBB4_34
; %bb.29:
	v_add_u32_e32 v16, 1, v19
	v_cndmask_b32_e64 v16, v16, v19, s[6:7]
	v_cmp_lt_i32_e64 s[2:3], v16, v15
	s_waitcnt lgkmcnt(0)
	v_cmp_nlt_f32_e64 s[4:5], v8, v6
	s_and_b64 s[10:11], s[2:3], s[4:5]
	s_mov_b64 s[2:3], -1
	s_and_saveexec_b64 s[4:5], s[10:11]
	s_cbranch_execz .LBB4_33
; %bb.30:
	v_cmp_eq_f32_e64 s[2:3], v8, v6
	s_mov_b64 s[10:11], 0
	s_and_saveexec_b64 s[12:13], s[2:3]
; %bb.31:
	v_cmp_lt_f32_e64 s[2:3], v9, v7
	s_and_b64 s[10:11], s[2:3], exec
; %bb.32:
	s_or_b64 exec, exec, s[12:13]
	s_orn2_b64 s[2:3], s[10:11], exec
.LBB4_33:
	s_or_b64 exec, exec, s[4:5]
	s_and_b64 s[4:5], s[2:3], exec
.LBB4_34:
	s_or_b64 exec, exec, s[8:9]
	v_cndmask_b32_e64 v2, v2, v4, s[6:7]
	v_cndmask_b32_e64 v3, v3, v5, s[6:7]
	s_waitcnt lgkmcnt(0)
	v_cndmask_b32_e64 v5, v7, v9, s[4:5]
	v_cndmask_b32_e64 v4, v6, v8, s[4:5]
	; wave barrier
	ds_write2_b64 v13, v[2:3], v[4:5] offset1:1
	v_and_b32_e32 v3, 56, v14
	v_min_i32_e32 v6, v10, v3
	v_add_u32_e32 v3, 4, v6
	v_min_i32_e32 v15, v10, v3
	v_add_u32_e32 v3, 4, v15
	v_and_b32_e32 v2, 6, v14
	v_min_i32_e32 v16, v10, v3
	v_min_i32_e32 v2, v10, v2
	v_sub_u32_e32 v5, v16, v15
	v_sub_u32_e32 v4, v15, v6
	;; [unrolled: 1-line block ×3, first 2 shown]
	v_cmp_ge_i32_e64 s[2:3], v2, v5
	v_cndmask_b32_e64 v7, 0, v7, s[2:3]
	v_min_i32_e32 v4, v2, v4
	v_lshl_add_u32 v3, v6, 3, v11
	v_cmp_lt_i32_e64 s[2:3], v7, v4
	; wave barrier
	s_and_saveexec_b64 s[4:5], s[2:3]
	s_cbranch_execz .LBB4_42
; %bb.35:
	v_lshlrev_b32_e32 v5, 3, v15
	v_lshlrev_b32_e32 v8, 3, v2
	v_add3_u32 v5, v11, v5, v8
	s_mov_b64 s[6:7], 0
                                        ; implicit-def: $sgpr8_sgpr9
	s_branch .LBB4_38
.LBB4_36:                               ;   in Loop: Header=BB4_38 Depth=1
	s_or_b64 exec, exec, s[14:15]
	s_andn2_b64 s[2:3], s[8:9], exec
	s_and_b64 s[8:9], s[12:13], exec
	s_or_b64 s[8:9], s[2:3], s[8:9]
.LBB4_37:                               ;   in Loop: Header=BB4_38 Depth=1
	s_or_b64 exec, exec, s[10:11]
	v_add_u32_e32 v9, 1, v8
	v_cndmask_b32_e64 v4, v4, v8, s[8:9]
	v_cndmask_b32_e64 v7, v9, v7, s[8:9]
	v_cmp_ge_i32_e64 s[2:3], v7, v4
	s_or_b64 s[6:7], s[2:3], s[6:7]
	s_andn2_b64 exec, exec, s[6:7]
	s_cbranch_execz .LBB4_41
.LBB4_38:                               ; =>This Inner Loop Header: Depth=1
	v_sub_u32_e32 v8, v4, v7
	v_lshrrev_b32_e32 v9, 31, v8
	v_add_u32_e32 v8, v8, v9
	v_ashrrev_i32_e32 v8, 1, v8
	v_add_u32_e32 v8, v8, v7
	v_lshl_add_u32 v9, v8, 3, v3
	v_not_b32_e32 v17, v8
	v_lshl_add_u32 v17, v17, 3, v5
	ds_read_b32 v18, v9
	ds_read_b32 v19, v17
	s_or_b64 s[8:9], s[8:9], exec
	s_waitcnt lgkmcnt(0)
	v_cmp_nlt_f32_e64 s[2:3], v19, v18
	s_and_saveexec_b64 s[10:11], s[2:3]
	s_cbranch_execz .LBB4_37
; %bb.39:                               ;   in Loop: Header=BB4_38 Depth=1
	v_cmp_eq_f32_e64 s[2:3], v19, v18
	s_mov_b64 s[12:13], 0
	s_and_saveexec_b64 s[14:15], s[2:3]
	s_cbranch_execz .LBB4_36
; %bb.40:                               ;   in Loop: Header=BB4_38 Depth=1
	ds_read_b32 v17, v17 offset:4
	ds_read_b32 v9, v9 offset:4
	s_waitcnt lgkmcnt(0)
	v_cmp_lt_f32_e64 s[2:3], v17, v9
	s_and_b64 s[12:13], s[2:3], exec
	s_branch .LBB4_36
.LBB4_41:
	s_or_b64 exec, exec, s[6:7]
.LBB4_42:
	s_or_b64 exec, exec, s[4:5]
	v_add_u32_e32 v2, v15, v2
	v_sub_u32_e32 v17, v2, v7
	v_lshl_add_u32 v8, v7, 3, v3
	v_lshl_add_u32 v18, v17, 3, v11
	ds_read_b64 v[2:3], v8
	ds_read_b64 v[4:5], v18
	v_cmp_le_i32_e64 s[2:3], v16, v17
                                        ; implicit-def: $sgpr6_sgpr7
	s_and_saveexec_b64 s[4:5], s[2:3]
	s_xor_b64 s[2:3], exec, s[4:5]
; %bb.43:
	s_mov_b64 s[6:7], 0
; %bb.44:
	s_or_saveexec_b64 s[8:9], s[2:3]
	v_add_u32_e32 v19, v7, v6
	s_xor_b64 exec, exec, s[8:9]
	s_cbranch_execz .LBB4_50
; %bb.45:
	v_cmp_gt_i32_e64 s[2:3], v15, v19
	s_waitcnt lgkmcnt(0)
	v_cmp_nlt_f32_e64 s[4:5], v4, v2
	s_and_b64 s[10:11], s[2:3], s[4:5]
	s_mov_b64 s[2:3], -1
	s_and_saveexec_b64 s[4:5], s[10:11]
	s_cbranch_execz .LBB4_49
; %bb.46:
	v_cmp_eq_f32_e64 s[2:3], v4, v2
	s_mov_b64 s[10:11], 0
	s_and_saveexec_b64 s[12:13], s[2:3]
; %bb.47:
	v_cmp_lt_f32_e64 s[2:3], v5, v3
	s_and_b64 s[10:11], s[2:3], exec
; %bb.48:
	s_or_b64 exec, exec, s[12:13]
	s_orn2_b64 s[2:3], s[10:11], exec
.LBB4_49:
	s_or_b64 exec, exec, s[4:5]
	s_andn2_b64 s[4:5], s[6:7], exec
	s_and_b64 s[2:3], s[2:3], exec
	s_or_b64 s[6:7], s[4:5], s[2:3]
.LBB4_50:
	s_or_b64 exec, exec, s[8:9]
	s_xor_b64 s[2:3], s[6:7], -1
                                        ; implicit-def: $vgpr6_vgpr7
	s_and_saveexec_b64 s[4:5], s[2:3]
	s_xor_b64 s[2:3], exec, s[4:5]
	s_cbranch_execz .LBB4_52
; %bb.51:
	ds_read_b64 v[6:7], v8 offset:8
                                        ; implicit-def: $vgpr18
.LBB4_52:
	s_or_saveexec_b64 s[2:3], s[2:3]
	s_waitcnt lgkmcnt(0)
	v_pk_mov_b32 v[8:9], v[4:5], v[4:5] op_sel:[0,1]
	s_xor_b64 exec, exec, s[2:3]
	s_cbranch_execz .LBB4_54
; %bb.53:
	ds_read_b64 v[8:9], v18 offset:8
	v_pk_mov_b32 v[6:7], v[2:3], v[2:3] op_sel:[0,1]
.LBB4_54:
	s_or_b64 exec, exec, s[2:3]
	v_add_u32_e32 v18, 1, v17
	v_cndmask_b32_e64 v17, v17, v18, s[6:7]
	v_cmp_lt_i32_e64 s[2:3], v17, v16
	s_mov_b64 s[4:5], 0
	s_and_saveexec_b64 s[8:9], s[2:3]
	s_cbranch_execz .LBB4_60
; %bb.55:
	v_add_u32_e32 v16, 1, v19
	v_cndmask_b32_e64 v16, v16, v19, s[6:7]
	v_cmp_lt_i32_e64 s[2:3], v16, v15
	s_waitcnt lgkmcnt(0)
	v_cmp_nlt_f32_e64 s[4:5], v8, v6
	s_and_b64 s[10:11], s[2:3], s[4:5]
	s_mov_b64 s[2:3], -1
	s_and_saveexec_b64 s[4:5], s[10:11]
	s_cbranch_execz .LBB4_59
; %bb.56:
	v_cmp_eq_f32_e64 s[2:3], v8, v6
	s_mov_b64 s[10:11], 0
	s_and_saveexec_b64 s[12:13], s[2:3]
; %bb.57:
	v_cmp_lt_f32_e64 s[2:3], v9, v7
	s_and_b64 s[10:11], s[2:3], exec
; %bb.58:
	s_or_b64 exec, exec, s[12:13]
	s_orn2_b64 s[2:3], s[10:11], exec
.LBB4_59:
	s_or_b64 exec, exec, s[4:5]
	s_and_b64 s[4:5], s[2:3], exec
.LBB4_60:
	s_or_b64 exec, exec, s[8:9]
	v_cndmask_b32_e64 v2, v2, v4, s[6:7]
	v_cndmask_b32_e64 v3, v3, v5, s[6:7]
	s_waitcnt lgkmcnt(0)
	v_cndmask_b32_e64 v5, v7, v9, s[4:5]
	v_cndmask_b32_e64 v4, v6, v8, s[4:5]
	; wave barrier
	ds_write2_b64 v13, v[2:3], v[4:5] offset1:1
	v_and_b32_e32 v3, 48, v14
	v_min_i32_e32 v6, v10, v3
	v_add_u32_e32 v3, 8, v6
	v_min_i32_e32 v15, v10, v3
	v_add_u32_e32 v3, 8, v15
	v_and_b32_e32 v2, 14, v14
	v_min_i32_e32 v16, v10, v3
	v_min_i32_e32 v2, v10, v2
	v_sub_u32_e32 v5, v16, v15
	v_sub_u32_e32 v4, v15, v6
	;; [unrolled: 1-line block ×3, first 2 shown]
	v_cmp_ge_i32_e64 s[2:3], v2, v5
	v_cndmask_b32_e64 v7, 0, v7, s[2:3]
	v_min_i32_e32 v4, v2, v4
	v_lshl_add_u32 v3, v6, 3, v11
	v_cmp_lt_i32_e64 s[2:3], v7, v4
	; wave barrier
	s_and_saveexec_b64 s[4:5], s[2:3]
	s_cbranch_execz .LBB4_68
; %bb.61:
	v_lshlrev_b32_e32 v5, 3, v15
	v_lshlrev_b32_e32 v8, 3, v2
	v_add3_u32 v5, v11, v5, v8
	s_mov_b64 s[6:7], 0
                                        ; implicit-def: $sgpr8_sgpr9
	s_branch .LBB4_64
.LBB4_62:                               ;   in Loop: Header=BB4_64 Depth=1
	s_or_b64 exec, exec, s[14:15]
	s_andn2_b64 s[2:3], s[8:9], exec
	s_and_b64 s[8:9], s[12:13], exec
	s_or_b64 s[8:9], s[2:3], s[8:9]
.LBB4_63:                               ;   in Loop: Header=BB4_64 Depth=1
	s_or_b64 exec, exec, s[10:11]
	v_add_u32_e32 v9, 1, v8
	v_cndmask_b32_e64 v4, v4, v8, s[8:9]
	v_cndmask_b32_e64 v7, v9, v7, s[8:9]
	v_cmp_ge_i32_e64 s[2:3], v7, v4
	s_or_b64 s[6:7], s[2:3], s[6:7]
	s_andn2_b64 exec, exec, s[6:7]
	s_cbranch_execz .LBB4_67
.LBB4_64:                               ; =>This Inner Loop Header: Depth=1
	v_sub_u32_e32 v8, v4, v7
	v_lshrrev_b32_e32 v9, 31, v8
	v_add_u32_e32 v8, v8, v9
	v_ashrrev_i32_e32 v8, 1, v8
	v_add_u32_e32 v8, v8, v7
	v_lshl_add_u32 v9, v8, 3, v3
	v_not_b32_e32 v17, v8
	v_lshl_add_u32 v17, v17, 3, v5
	ds_read_b32 v18, v9
	ds_read_b32 v19, v17
	s_or_b64 s[8:9], s[8:9], exec
	s_waitcnt lgkmcnt(0)
	v_cmp_nlt_f32_e64 s[2:3], v19, v18
	s_and_saveexec_b64 s[10:11], s[2:3]
	s_cbranch_execz .LBB4_63
; %bb.65:                               ;   in Loop: Header=BB4_64 Depth=1
	v_cmp_eq_f32_e64 s[2:3], v19, v18
	s_mov_b64 s[12:13], 0
	s_and_saveexec_b64 s[14:15], s[2:3]
	s_cbranch_execz .LBB4_62
; %bb.66:                               ;   in Loop: Header=BB4_64 Depth=1
	ds_read_b32 v17, v17 offset:4
	ds_read_b32 v9, v9 offset:4
	s_waitcnt lgkmcnt(0)
	v_cmp_lt_f32_e64 s[2:3], v17, v9
	s_and_b64 s[12:13], s[2:3], exec
	s_branch .LBB4_62
.LBB4_67:
	s_or_b64 exec, exec, s[6:7]
.LBB4_68:
	s_or_b64 exec, exec, s[4:5]
	v_add_u32_e32 v2, v15, v2
	v_sub_u32_e32 v17, v2, v7
	v_lshl_add_u32 v8, v7, 3, v3
	v_lshl_add_u32 v18, v17, 3, v11
	ds_read_b64 v[2:3], v8
	ds_read_b64 v[4:5], v18
	v_cmp_le_i32_e64 s[2:3], v16, v17
                                        ; implicit-def: $sgpr6_sgpr7
	s_and_saveexec_b64 s[4:5], s[2:3]
	s_xor_b64 s[2:3], exec, s[4:5]
; %bb.69:
	s_mov_b64 s[6:7], 0
; %bb.70:
	s_or_saveexec_b64 s[8:9], s[2:3]
	v_add_u32_e32 v19, v7, v6
	s_xor_b64 exec, exec, s[8:9]
	s_cbranch_execz .LBB4_76
; %bb.71:
	v_cmp_gt_i32_e64 s[2:3], v15, v19
	s_waitcnt lgkmcnt(0)
	v_cmp_nlt_f32_e64 s[4:5], v4, v2
	s_and_b64 s[10:11], s[2:3], s[4:5]
	s_mov_b64 s[2:3], -1
	s_and_saveexec_b64 s[4:5], s[10:11]
	s_cbranch_execz .LBB4_75
; %bb.72:
	v_cmp_eq_f32_e64 s[2:3], v4, v2
	s_mov_b64 s[10:11], 0
	s_and_saveexec_b64 s[12:13], s[2:3]
; %bb.73:
	v_cmp_lt_f32_e64 s[2:3], v5, v3
	s_and_b64 s[10:11], s[2:3], exec
; %bb.74:
	s_or_b64 exec, exec, s[12:13]
	s_orn2_b64 s[2:3], s[10:11], exec
.LBB4_75:
	s_or_b64 exec, exec, s[4:5]
	s_andn2_b64 s[4:5], s[6:7], exec
	s_and_b64 s[2:3], s[2:3], exec
	s_or_b64 s[6:7], s[4:5], s[2:3]
.LBB4_76:
	s_or_b64 exec, exec, s[8:9]
	s_xor_b64 s[2:3], s[6:7], -1
                                        ; implicit-def: $vgpr6_vgpr7
	s_and_saveexec_b64 s[4:5], s[2:3]
	s_xor_b64 s[2:3], exec, s[4:5]
	s_cbranch_execz .LBB4_78
; %bb.77:
	ds_read_b64 v[6:7], v8 offset:8
                                        ; implicit-def: $vgpr18
.LBB4_78:
	s_or_saveexec_b64 s[2:3], s[2:3]
	s_waitcnt lgkmcnt(0)
	v_pk_mov_b32 v[8:9], v[4:5], v[4:5] op_sel:[0,1]
	s_xor_b64 exec, exec, s[2:3]
	s_cbranch_execz .LBB4_80
; %bb.79:
	ds_read_b64 v[8:9], v18 offset:8
	v_pk_mov_b32 v[6:7], v[2:3], v[2:3] op_sel:[0,1]
.LBB4_80:
	s_or_b64 exec, exec, s[2:3]
	v_add_u32_e32 v18, 1, v17
	v_cndmask_b32_e64 v17, v17, v18, s[6:7]
	v_cmp_lt_i32_e64 s[2:3], v17, v16
	s_mov_b64 s[4:5], 0
	s_and_saveexec_b64 s[8:9], s[2:3]
	s_cbranch_execz .LBB4_86
; %bb.81:
	v_add_u32_e32 v16, 1, v19
	v_cndmask_b32_e64 v16, v16, v19, s[6:7]
	v_cmp_lt_i32_e64 s[2:3], v16, v15
	s_waitcnt lgkmcnt(0)
	v_cmp_nlt_f32_e64 s[4:5], v8, v6
	s_and_b64 s[10:11], s[2:3], s[4:5]
	s_mov_b64 s[2:3], -1
	s_and_saveexec_b64 s[4:5], s[10:11]
	s_cbranch_execz .LBB4_85
; %bb.82:
	v_cmp_eq_f32_e64 s[2:3], v8, v6
	s_mov_b64 s[10:11], 0
	s_and_saveexec_b64 s[12:13], s[2:3]
; %bb.83:
	v_cmp_lt_f32_e64 s[2:3], v9, v7
	s_and_b64 s[10:11], s[2:3], exec
; %bb.84:
	s_or_b64 exec, exec, s[12:13]
	s_orn2_b64 s[2:3], s[10:11], exec
.LBB4_85:
	s_or_b64 exec, exec, s[4:5]
	s_and_b64 s[4:5], s[2:3], exec
.LBB4_86:
	s_or_b64 exec, exec, s[8:9]
	v_cndmask_b32_e64 v2, v2, v4, s[6:7]
	v_cndmask_b32_e64 v3, v3, v5, s[6:7]
	s_waitcnt lgkmcnt(0)
	v_cndmask_b32_e64 v5, v7, v9, s[4:5]
	v_cndmask_b32_e64 v4, v6, v8, s[4:5]
	; wave barrier
	ds_write2_b64 v13, v[2:3], v[4:5] offset1:1
	v_and_b32_e32 v3, 32, v14
	v_min_i32_e32 v6, v10, v3
	v_add_u32_e32 v3, 16, v6
	v_and_b32_e32 v2, 30, v14
	v_min_i32_e32 v14, v10, v3
	v_add_u32_e32 v3, 16, v14
	v_min_i32_e32 v15, v10, v3
	v_min_i32_e32 v2, v10, v2
	v_sub_u32_e32 v5, v15, v14
	v_sub_u32_e32 v4, v14, v6
	;; [unrolled: 1-line block ×3, first 2 shown]
	v_cmp_ge_i32_e64 s[2:3], v2, v5
	v_cndmask_b32_e64 v7, 0, v7, s[2:3]
	v_min_i32_e32 v4, v2, v4
	v_lshl_add_u32 v3, v6, 3, v11
	v_cmp_lt_i32_e64 s[2:3], v7, v4
	; wave barrier
	s_and_saveexec_b64 s[4:5], s[2:3]
	s_cbranch_execz .LBB4_94
; %bb.87:
	v_lshlrev_b32_e32 v5, 3, v14
	v_lshlrev_b32_e32 v8, 3, v2
	v_add3_u32 v5, v11, v5, v8
	s_mov_b64 s[6:7], 0
                                        ; implicit-def: $sgpr8_sgpr9
	s_branch .LBB4_90
.LBB4_88:                               ;   in Loop: Header=BB4_90 Depth=1
	s_or_b64 exec, exec, s[14:15]
	s_andn2_b64 s[2:3], s[8:9], exec
	s_and_b64 s[8:9], s[12:13], exec
	s_or_b64 s[8:9], s[2:3], s[8:9]
.LBB4_89:                               ;   in Loop: Header=BB4_90 Depth=1
	s_or_b64 exec, exec, s[10:11]
	v_add_u32_e32 v9, 1, v8
	v_cndmask_b32_e64 v4, v4, v8, s[8:9]
	v_cndmask_b32_e64 v7, v9, v7, s[8:9]
	v_cmp_ge_i32_e64 s[2:3], v7, v4
	s_or_b64 s[6:7], s[2:3], s[6:7]
	s_andn2_b64 exec, exec, s[6:7]
	s_cbranch_execz .LBB4_93
.LBB4_90:                               ; =>This Inner Loop Header: Depth=1
	v_sub_u32_e32 v8, v4, v7
	v_lshrrev_b32_e32 v9, 31, v8
	v_add_u32_e32 v8, v8, v9
	v_ashrrev_i32_e32 v8, 1, v8
	v_add_u32_e32 v8, v8, v7
	v_lshl_add_u32 v9, v8, 3, v3
	v_not_b32_e32 v16, v8
	v_lshl_add_u32 v16, v16, 3, v5
	ds_read_b32 v17, v9
	ds_read_b32 v18, v16
	s_or_b64 s[8:9], s[8:9], exec
	s_waitcnt lgkmcnt(0)
	v_cmp_nlt_f32_e64 s[2:3], v18, v17
	s_and_saveexec_b64 s[10:11], s[2:3]
	s_cbranch_execz .LBB4_89
; %bb.91:                               ;   in Loop: Header=BB4_90 Depth=1
	v_cmp_eq_f32_e64 s[2:3], v18, v17
	s_mov_b64 s[12:13], 0
	s_and_saveexec_b64 s[14:15], s[2:3]
	s_cbranch_execz .LBB4_88
; %bb.92:                               ;   in Loop: Header=BB4_90 Depth=1
	ds_read_b32 v16, v16 offset:4
	ds_read_b32 v9, v9 offset:4
	s_waitcnt lgkmcnt(0)
	v_cmp_lt_f32_e64 s[2:3], v16, v9
	s_and_b64 s[12:13], s[2:3], exec
	s_branch .LBB4_88
.LBB4_93:
	s_or_b64 exec, exec, s[6:7]
.LBB4_94:
	s_or_b64 exec, exec, s[4:5]
	v_add_u32_e32 v2, v14, v2
	v_sub_u32_e32 v16, v2, v7
	v_lshl_add_u32 v8, v7, 3, v3
	v_lshl_add_u32 v17, v16, 3, v11
	ds_read_b64 v[2:3], v8
	ds_read_b64 v[4:5], v17
	v_cmp_le_i32_e64 s[2:3], v15, v16
                                        ; implicit-def: $sgpr6_sgpr7
	s_and_saveexec_b64 s[4:5], s[2:3]
	s_xor_b64 s[2:3], exec, s[4:5]
; %bb.95:
	s_mov_b64 s[6:7], 0
; %bb.96:
	s_or_saveexec_b64 s[8:9], s[2:3]
	v_add_u32_e32 v18, v7, v6
	s_xor_b64 exec, exec, s[8:9]
	s_cbranch_execz .LBB4_102
; %bb.97:
	v_cmp_gt_i32_e64 s[2:3], v14, v18
	s_waitcnt lgkmcnt(0)
	v_cmp_nlt_f32_e64 s[4:5], v4, v2
	s_and_b64 s[10:11], s[2:3], s[4:5]
	s_mov_b64 s[2:3], -1
	s_and_saveexec_b64 s[4:5], s[10:11]
	s_cbranch_execz .LBB4_101
; %bb.98:
	v_cmp_eq_f32_e64 s[2:3], v4, v2
	s_mov_b64 s[10:11], 0
	s_and_saveexec_b64 s[12:13], s[2:3]
; %bb.99:
	v_cmp_lt_f32_e64 s[2:3], v5, v3
	s_and_b64 s[10:11], s[2:3], exec
; %bb.100:
	s_or_b64 exec, exec, s[12:13]
	s_orn2_b64 s[2:3], s[10:11], exec
.LBB4_101:
	s_or_b64 exec, exec, s[4:5]
	s_andn2_b64 s[4:5], s[6:7], exec
	s_and_b64 s[2:3], s[2:3], exec
	s_or_b64 s[6:7], s[4:5], s[2:3]
.LBB4_102:
	s_or_b64 exec, exec, s[8:9]
	s_xor_b64 s[2:3], s[6:7], -1
                                        ; implicit-def: $vgpr6_vgpr7
	s_and_saveexec_b64 s[4:5], s[2:3]
	s_xor_b64 s[2:3], exec, s[4:5]
	s_cbranch_execz .LBB4_104
; %bb.103:
	ds_read_b64 v[6:7], v8 offset:8
                                        ; implicit-def: $vgpr17
.LBB4_104:
	s_or_saveexec_b64 s[2:3], s[2:3]
	s_waitcnt lgkmcnt(0)
	v_pk_mov_b32 v[8:9], v[4:5], v[4:5] op_sel:[0,1]
	s_xor_b64 exec, exec, s[2:3]
	s_cbranch_execz .LBB4_106
; %bb.105:
	ds_read_b64 v[8:9], v17 offset:8
	v_pk_mov_b32 v[6:7], v[2:3], v[2:3] op_sel:[0,1]
.LBB4_106:
	s_or_b64 exec, exec, s[2:3]
	v_add_u32_e32 v17, 1, v16
	v_cndmask_b32_e64 v16, v16, v17, s[6:7]
	v_cmp_lt_i32_e64 s[2:3], v16, v15
	s_mov_b64 s[4:5], 0
	s_and_saveexec_b64 s[8:9], s[2:3]
	s_cbranch_execz .LBB4_112
; %bb.107:
	v_add_u32_e32 v15, 1, v18
	v_cndmask_b32_e64 v15, v15, v18, s[6:7]
	v_cmp_lt_i32_e64 s[2:3], v15, v14
	s_waitcnt lgkmcnt(0)
	v_cmp_nlt_f32_e64 s[4:5], v8, v6
	s_and_b64 s[10:11], s[2:3], s[4:5]
	s_mov_b64 s[2:3], -1
	s_and_saveexec_b64 s[4:5], s[10:11]
	s_cbranch_execz .LBB4_111
; %bb.108:
	v_cmp_eq_f32_e64 s[2:3], v8, v6
	s_mov_b64 s[10:11], 0
	s_and_saveexec_b64 s[12:13], s[2:3]
; %bb.109:
	v_cmp_lt_f32_e64 s[2:3], v9, v7
	s_and_b64 s[10:11], s[2:3], exec
; %bb.110:
	s_or_b64 exec, exec, s[12:13]
	s_orn2_b64 s[2:3], s[10:11], exec
.LBB4_111:
	s_or_b64 exec, exec, s[4:5]
	s_and_b64 s[4:5], s[2:3], exec
.LBB4_112:
	s_or_b64 exec, exec, s[8:9]
	v_cndmask_b32_e64 v2, v2, v4, s[6:7]
	v_cndmask_b32_e64 v3, v3, v5, s[6:7]
	s_waitcnt lgkmcnt(0)
	v_cndmask_b32_e64 v5, v7, v9, s[4:5]
	v_cndmask_b32_e64 v4, v6, v8, s[4:5]
	v_min_i32_e32 v6, 0, v10
	; wave barrier
	ds_write2_b64 v13, v[2:3], v[4:5] offset1:1
	v_add_u32_e32 v3, 32, v6
	v_min_i32_e32 v2, v10, v12
	v_min_i32_e32 v12, v10, v3
	v_add_u32_e32 v3, 32, v12
	v_min_i32_e32 v10, v10, v3
	v_sub_u32_e32 v5, v10, v12
	v_sub_u32_e32 v4, v12, v6
	;; [unrolled: 1-line block ×3, first 2 shown]
	v_cmp_ge_i32_e64 s[2:3], v2, v5
	v_cndmask_b32_e64 v7, 0, v7, s[2:3]
	v_min_i32_e32 v4, v2, v4
	v_lshl_add_u32 v3, v6, 3, v11
	v_cmp_lt_i32_e64 s[2:3], v7, v4
	; wave barrier
	s_and_saveexec_b64 s[4:5], s[2:3]
	s_cbranch_execz .LBB4_120
; %bb.113:
	v_lshlrev_b32_e32 v5, 3, v12
	v_lshlrev_b32_e32 v8, 3, v2
	v_add3_u32 v5, v11, v5, v8
	s_mov_b64 s[6:7], 0
                                        ; implicit-def: $sgpr8_sgpr9
	s_branch .LBB4_116
.LBB4_114:                              ;   in Loop: Header=BB4_116 Depth=1
	s_or_b64 exec, exec, s[14:15]
	s_andn2_b64 s[2:3], s[8:9], exec
	s_and_b64 s[8:9], s[12:13], exec
	s_or_b64 s[8:9], s[2:3], s[8:9]
.LBB4_115:                              ;   in Loop: Header=BB4_116 Depth=1
	s_or_b64 exec, exec, s[10:11]
	v_add_u32_e32 v9, 1, v8
	v_cndmask_b32_e64 v4, v4, v8, s[8:9]
	v_cndmask_b32_e64 v7, v9, v7, s[8:9]
	v_cmp_ge_i32_e64 s[2:3], v7, v4
	s_or_b64 s[6:7], s[2:3], s[6:7]
	s_andn2_b64 exec, exec, s[6:7]
	s_cbranch_execz .LBB4_119
.LBB4_116:                              ; =>This Inner Loop Header: Depth=1
	v_sub_u32_e32 v8, v4, v7
	v_lshrrev_b32_e32 v9, 31, v8
	v_add_u32_e32 v8, v8, v9
	v_ashrrev_i32_e32 v8, 1, v8
	v_add_u32_e32 v8, v8, v7
	v_lshl_add_u32 v9, v8, 3, v3
	v_not_b32_e32 v13, v8
	v_lshl_add_u32 v13, v13, 3, v5
	ds_read_b32 v14, v9
	ds_read_b32 v15, v13
	s_or_b64 s[8:9], s[8:9], exec
	s_waitcnt lgkmcnt(0)
	v_cmp_nlt_f32_e64 s[2:3], v15, v14
	s_and_saveexec_b64 s[10:11], s[2:3]
	s_cbranch_execz .LBB4_115
; %bb.117:                              ;   in Loop: Header=BB4_116 Depth=1
	v_cmp_eq_f32_e64 s[2:3], v15, v14
	s_mov_b64 s[12:13], 0
	s_and_saveexec_b64 s[14:15], s[2:3]
	s_cbranch_execz .LBB4_114
; %bb.118:                              ;   in Loop: Header=BB4_116 Depth=1
	ds_read_b32 v13, v13 offset:4
	ds_read_b32 v9, v9 offset:4
	s_waitcnt lgkmcnt(0)
	v_cmp_lt_f32_e64 s[2:3], v13, v9
	s_and_b64 s[12:13], s[2:3], exec
	s_branch .LBB4_114
.LBB4_119:
	s_or_b64 exec, exec, s[6:7]
.LBB4_120:
	s_or_b64 exec, exec, s[4:5]
	v_add_u32_e32 v2, v2, v12
	v_sub_u32_e32 v13, v2, v7
	v_lshl_add_u32 v8, v7, 3, v3
	v_lshl_add_u32 v11, v13, 3, v11
	ds_read_b64 v[2:3], v8
	ds_read_b64 v[4:5], v11
	v_cmp_le_i32_e64 s[2:3], v10, v13
                                        ; implicit-def: $sgpr6_sgpr7
	s_and_saveexec_b64 s[4:5], s[2:3]
	s_xor_b64 s[2:3], exec, s[4:5]
; %bb.121:
	s_mov_b64 s[6:7], 0
; %bb.122:
	s_or_saveexec_b64 s[8:9], s[2:3]
	v_add_u32_e32 v14, v7, v6
	s_xor_b64 exec, exec, s[8:9]
	s_cbranch_execz .LBB4_128
; %bb.123:
	v_cmp_gt_i32_e64 s[2:3], v12, v14
	s_waitcnt lgkmcnt(0)
	v_cmp_nlt_f32_e64 s[4:5], v4, v2
	s_and_b64 s[10:11], s[2:3], s[4:5]
	s_mov_b64 s[2:3], -1
	s_and_saveexec_b64 s[4:5], s[10:11]
	s_cbranch_execz .LBB4_127
; %bb.124:
	v_cmp_eq_f32_e64 s[2:3], v4, v2
	s_mov_b64 s[10:11], 0
	s_and_saveexec_b64 s[12:13], s[2:3]
; %bb.125:
	v_cmp_lt_f32_e64 s[2:3], v5, v3
	s_and_b64 s[10:11], s[2:3], exec
; %bb.126:
	s_or_b64 exec, exec, s[12:13]
	s_orn2_b64 s[2:3], s[10:11], exec
.LBB4_127:
	s_or_b64 exec, exec, s[4:5]
	s_andn2_b64 s[4:5], s[6:7], exec
	s_and_b64 s[2:3], s[2:3], exec
	s_or_b64 s[6:7], s[4:5], s[2:3]
.LBB4_128:
	s_or_b64 exec, exec, s[8:9]
	s_xor_b64 s[2:3], s[6:7], -1
                                        ; implicit-def: $vgpr6_vgpr7
	s_and_saveexec_b64 s[4:5], s[2:3]
	s_xor_b64 s[2:3], exec, s[4:5]
	s_cbranch_execz .LBB4_130
; %bb.129:
	ds_read_b64 v[6:7], v8 offset:8
                                        ; implicit-def: $vgpr11
.LBB4_130:
	s_or_saveexec_b64 s[2:3], s[2:3]
	s_waitcnt lgkmcnt(0)
	v_pk_mov_b32 v[8:9], v[4:5], v[4:5] op_sel:[0,1]
	s_xor_b64 exec, exec, s[2:3]
	s_cbranch_execz .LBB4_132
; %bb.131:
	ds_read_b64 v[8:9], v11 offset:8
	v_pk_mov_b32 v[6:7], v[2:3], v[2:3] op_sel:[0,1]
.LBB4_132:
	s_or_b64 exec, exec, s[2:3]
	v_add_u32_e32 v11, 1, v13
	v_cndmask_b32_e64 v11, v13, v11, s[6:7]
	v_cmp_lt_i32_e64 s[2:3], v11, v10
	s_mov_b64 s[4:5], 0
	s_and_saveexec_b64 s[8:9], s[2:3]
	s_cbranch_execnz .LBB4_136
; %bb.133:
	s_or_b64 exec, exec, s[8:9]
	s_and_saveexec_b64 s[2:3], vcc
	s_cbranch_execnz .LBB4_141
.LBB4_134:
	s_or_b64 exec, exec, s[2:3]
	s_and_saveexec_b64 s[2:3], s[0:1]
	s_cbranch_execnz .LBB4_142
.LBB4_135:
	s_endpgm
.LBB4_136:
	v_add_u32_e32 v10, 1, v14
	v_cndmask_b32_e64 v10, v10, v14, s[6:7]
	v_cmp_lt_i32_e64 s[2:3], v10, v12
	s_waitcnt lgkmcnt(0)
	v_cmp_nlt_f32_e64 s[4:5], v8, v6
	s_and_b64 s[10:11], s[2:3], s[4:5]
	s_mov_b64 s[2:3], -1
	s_and_saveexec_b64 s[4:5], s[10:11]
	s_cbranch_execz .LBB4_140
; %bb.137:
	v_cmp_eq_f32_e64 s[2:3], v8, v6
	s_mov_b64 s[10:11], 0
	s_and_saveexec_b64 s[12:13], s[2:3]
; %bb.138:
	v_cmp_lt_f32_e64 s[2:3], v9, v7
	s_and_b64 s[10:11], s[2:3], exec
; %bb.139:
	s_or_b64 exec, exec, s[12:13]
	s_orn2_b64 s[2:3], s[10:11], exec
.LBB4_140:
	s_or_b64 exec, exec, s[4:5]
	s_and_b64 s[4:5], s[2:3], exec
	s_or_b64 exec, exec, s[8:9]
	s_and_saveexec_b64 s[2:3], vcc
	s_cbranch_execz .LBB4_134
.LBB4_141:
	v_cndmask_b32_e64 v2, v2, v4, s[6:7]
	v_cndmask_b32_e64 v3, v3, v5, s[6:7]
	global_store_dwordx2 v[0:1], v[2:3], off
	s_or_b64 exec, exec, s[2:3]
	s_and_saveexec_b64 s[2:3], s[0:1]
	s_cbranch_execz .LBB4_135
.LBB4_142:
	s_waitcnt lgkmcnt(0)
	v_cndmask_b32_e64 v3, v7, v9, s[4:5]
	v_cndmask_b32_e64 v2, v6, v8, s[4:5]
	global_store_dwordx2 v[0:1], v[2:3], off offset:8
	s_endpgm
	.section	.rodata,"a",@progbits
	.p2align	6, 0x0
	.amdhsa_kernel _Z19sort_keys_segmentedILj256ELj32ELj2ELb0EN10test_utils16custom_test_typeIfEENS0_4lessEEvPT3_PKjT4_
		.amdhsa_group_segment_fixed_size 4160
		.amdhsa_private_segment_fixed_size 0
		.amdhsa_kernarg_size 20
		.amdhsa_user_sgpr_count 6
		.amdhsa_user_sgpr_private_segment_buffer 1
		.amdhsa_user_sgpr_dispatch_ptr 0
		.amdhsa_user_sgpr_queue_ptr 0
		.amdhsa_user_sgpr_kernarg_segment_ptr 1
		.amdhsa_user_sgpr_dispatch_id 0
		.amdhsa_user_sgpr_flat_scratch_init 0
		.amdhsa_user_sgpr_kernarg_preload_length 0
		.amdhsa_user_sgpr_kernarg_preload_offset 0
		.amdhsa_user_sgpr_private_segment_size 0
		.amdhsa_uses_dynamic_stack 0
		.amdhsa_system_sgpr_private_segment_wavefront_offset 0
		.amdhsa_system_sgpr_workgroup_id_x 1
		.amdhsa_system_sgpr_workgroup_id_y 0
		.amdhsa_system_sgpr_workgroup_id_z 0
		.amdhsa_system_sgpr_workgroup_info 0
		.amdhsa_system_vgpr_workitem_id 0
		.amdhsa_next_free_vgpr 20
		.amdhsa_next_free_sgpr 16
		.amdhsa_accum_offset 20
		.amdhsa_reserve_vcc 1
		.amdhsa_reserve_flat_scratch 0
		.amdhsa_float_round_mode_32 0
		.amdhsa_float_round_mode_16_64 0
		.amdhsa_float_denorm_mode_32 3
		.amdhsa_float_denorm_mode_16_64 3
		.amdhsa_dx10_clamp 1
		.amdhsa_ieee_mode 1
		.amdhsa_fp16_overflow 0
		.amdhsa_tg_split 0
		.amdhsa_exception_fp_ieee_invalid_op 0
		.amdhsa_exception_fp_denorm_src 0
		.amdhsa_exception_fp_ieee_div_zero 0
		.amdhsa_exception_fp_ieee_overflow 0
		.amdhsa_exception_fp_ieee_underflow 0
		.amdhsa_exception_fp_ieee_inexact 0
		.amdhsa_exception_int_div_zero 0
	.end_amdhsa_kernel
	.section	.text._Z19sort_keys_segmentedILj256ELj32ELj2ELb0EN10test_utils16custom_test_typeIfEENS0_4lessEEvPT3_PKjT4_,"axG",@progbits,_Z19sort_keys_segmentedILj256ELj32ELj2ELb0EN10test_utils16custom_test_typeIfEENS0_4lessEEvPT3_PKjT4_,comdat
.Lfunc_end4:
	.size	_Z19sort_keys_segmentedILj256ELj32ELj2ELb0EN10test_utils16custom_test_typeIfEENS0_4lessEEvPT3_PKjT4_, .Lfunc_end4-_Z19sort_keys_segmentedILj256ELj32ELj2ELb0EN10test_utils16custom_test_typeIfEENS0_4lessEEvPT3_PKjT4_
                                        ; -- End function
	.section	.AMDGPU.csdata,"",@progbits
; Kernel info:
; codeLenInByte = 4064
; NumSgprs: 20
; NumVgprs: 20
; NumAgprs: 0
; TotalNumVgprs: 20
; ScratchSize: 0
; MemoryBound: 0
; FloatMode: 240
; IeeeMode: 1
; LDSByteSize: 4160 bytes/workgroup (compile time only)
; SGPRBlocks: 2
; VGPRBlocks: 2
; NumSGPRsForWavesPerEU: 20
; NumVGPRsForWavesPerEU: 20
; AccumOffset: 20
; Occupancy: 8
; WaveLimiterHint : 0
; COMPUTE_PGM_RSRC2:SCRATCH_EN: 0
; COMPUTE_PGM_RSRC2:USER_SGPR: 6
; COMPUTE_PGM_RSRC2:TRAP_HANDLER: 0
; COMPUTE_PGM_RSRC2:TGID_X_EN: 1
; COMPUTE_PGM_RSRC2:TGID_Y_EN: 0
; COMPUTE_PGM_RSRC2:TGID_Z_EN: 0
; COMPUTE_PGM_RSRC2:TIDIG_COMP_CNT: 0
; COMPUTE_PGM_RSRC3_GFX90A:ACCUM_OFFSET: 4
; COMPUTE_PGM_RSRC3_GFX90A:TG_SPLIT: 0
	.section	.text._Z19sort_keys_segmentedILj32ELj32ELj1ELb0E12hip_bfloat16N10test_utils4lessEEvPT3_PKjT4_,"axG",@progbits,_Z19sort_keys_segmentedILj32ELj32ELj1ELb0E12hip_bfloat16N10test_utils4lessEEvPT3_PKjT4_,comdat
	.protected	_Z19sort_keys_segmentedILj32ELj32ELj1ELb0E12hip_bfloat16N10test_utils4lessEEvPT3_PKjT4_ ; -- Begin function _Z19sort_keys_segmentedILj32ELj32ELj1ELb0E12hip_bfloat16N10test_utils4lessEEvPT3_PKjT4_
	.globl	_Z19sort_keys_segmentedILj32ELj32ELj1ELb0E12hip_bfloat16N10test_utils4lessEEvPT3_PKjT4_
	.p2align	8
	.type	_Z19sort_keys_segmentedILj32ELj32ELj1ELb0E12hip_bfloat16N10test_utils4lessEEvPT3_PKjT4_,@function
_Z19sort_keys_segmentedILj32ELj32ELj1ELb0E12hip_bfloat16N10test_utils4lessEEvPT3_PKjT4_: ; @_Z19sort_keys_segmentedILj32ELj32ELj1ELb0E12hip_bfloat16N10test_utils4lessEEvPT3_PKjT4_
; %bb.0:
	s_load_dwordx4 s[0:3], s[4:5], 0x0
	s_mov_b32 s7, 0
	s_lshl_b64 s[4:5], s[6:7], 2
	v_mbcnt_lo_u32_b32 v0, -1, 0
	v_mbcnt_hi_u32_b32 v4, -1, v0
	s_waitcnt lgkmcnt(0)
	s_add_u32 s2, s2, s4
	s_addc_u32 s3, s3, s5
	s_load_dword s8, s[2:3], 0x0
	s_lshl_b32 s6, s6, 5
	s_lshl_b64 s[2:3], s[6:7], 1
	s_add_u32 s0, s0, s2
	v_and_b32_e32 v3, 31, v4
	s_addc_u32 s1, s1, s3
	v_pk_mov_b32 v[0:1], s[0:1], s[0:1] op_sel:[0,1]
	s_waitcnt lgkmcnt(0)
	v_cmp_gt_u32_e32 vcc, s8, v3
	v_lshlrev_b32_e32 v2, 1, v3
                                        ; implicit-def: $vgpr5
	s_and_saveexec_b64 s[2:3], vcc
	s_cbranch_execz .LBB5_2
; %bb.1:
	v_add_co_u32_e64 v6, s[0:1], v0, v2
	v_addc_co_u32_e64 v7, s[0:1], 0, v1, s[0:1]
	global_load_ushort v5, v[6:7], off
.LBB5_2:
	s_or_b64 exec, exec, s[2:3]
	; wave barrier
	s_waitcnt vmcnt(0)
	ds_write_b16 v2, v5
	v_and_b32_e32 v5, 30, v4
	v_and_b32_e32 v6, 1, v4
	v_min_i32_e32 v5, s8, v5
	v_min_i32_e32 v8, s8, v6
	v_add_u32_e32 v6, 1, v5
	v_min_i32_e32 v6, s8, v6
	v_add_u32_e32 v7, 1, v6
	v_min_i32_e32 v7, s8, v7
	v_sub_u32_e32 v9, v7, v6
	v_sub_u32_e32 v11, v6, v5
	;; [unrolled: 1-line block ×3, first 2 shown]
	v_cmp_ge_i32_e64 s[0:1], v8, v9
	v_cndmask_b32_e64 v9, 0, v12, s[0:1]
	v_min_i32_e32 v11, v8, v11
	v_lshlrev_b32_e32 v10, 1, v5
	v_cmp_lt_i32_e64 s[0:1], v9, v11
	; wave barrier
	s_and_saveexec_b64 s[2:3], s[0:1]
	s_cbranch_execz .LBB5_6
; %bb.3:
	v_lshlrev_b32_e32 v12, 1, v8
	v_lshl_add_u32 v12, v6, 1, v12
	s_mov_b64 s[4:5], 0
.LBB5_4:                                ; =>This Inner Loop Header: Depth=1
	v_sub_u32_e32 v13, v11, v9
	v_lshrrev_b32_e32 v14, 31, v13
	v_add_u32_e32 v13, v13, v14
	v_ashrrev_i32_e32 v13, 1, v13
	v_add_u32_e32 v13, v13, v9
	v_not_b32_e32 v15, v13
	v_lshl_add_u32 v14, v13, 1, v10
	v_lshl_add_u32 v15, v15, 1, v12
	ds_read_u16 v14, v14
	ds_read_u16 v15, v15
	v_add_u32_e32 v16, 1, v13
	s_waitcnt lgkmcnt(1)
	v_lshlrev_b32_e32 v14, 16, v14
	s_waitcnt lgkmcnt(0)
	v_lshlrev_b32_e32 v15, 16, v15
	v_cmp_lt_f32_e64 s[0:1], v15, v14
	v_cndmask_b32_e64 v11, v11, v13, s[0:1]
	v_cndmask_b32_e64 v9, v16, v9, s[0:1]
	v_cmp_ge_i32_e64 s[0:1], v9, v11
	s_or_b64 s[4:5], s[0:1], s[4:5]
	s_andn2_b64 exec, exec, s[4:5]
	s_cbranch_execnz .LBB5_4
; %bb.5:
	s_or_b64 exec, exec, s[4:5]
.LBB5_6:
	s_or_b64 exec, exec, s[2:3]
	v_add_u32_e32 v8, v6, v8
	v_sub_u32_e32 v8, v8, v9
	v_lshl_add_u32 v10, v9, 1, v10
	v_lshlrev_b32_e32 v11, 1, v8
	ds_read_u16 v10, v10
	ds_read_u16 v11, v11
	v_add_u32_e32 v5, v9, v5
	v_cmp_le_i32_e64 s[2:3], v6, v5
	v_cmp_gt_i32_e64 s[0:1], v7, v8
	s_waitcnt lgkmcnt(1)
	v_lshlrev_b32_e32 v5, 16, v10
	s_waitcnt lgkmcnt(0)
	v_lshlrev_b32_e32 v6, 16, v11
	v_cmp_lt_f32_e64 s[4:5], v6, v5
	s_or_b64 s[2:3], s[2:3], s[4:5]
	s_and_b64 s[0:1], s[0:1], s[2:3]
	v_cndmask_b32_e64 v5, v10, v11, s[0:1]
	; wave barrier
	ds_write_b16 v2, v5
	v_and_b32_e32 v5, 28, v4
	v_and_b32_e32 v6, 3, v4
	v_min_i32_e32 v5, s8, v5
	v_min_i32_e32 v8, s8, v6
	v_add_u32_e32 v6, 2, v5
	v_min_i32_e32 v6, s8, v6
	v_add_u32_e32 v7, 2, v6
	v_min_i32_e32 v7, s8, v7
	v_sub_u32_e32 v9, v7, v6
	v_sub_u32_e32 v11, v6, v5
	;; [unrolled: 1-line block ×3, first 2 shown]
	v_cmp_ge_i32_e64 s[0:1], v8, v9
	v_cndmask_b32_e64 v9, 0, v12, s[0:1]
	v_min_i32_e32 v11, v8, v11
	v_lshlrev_b32_e32 v10, 1, v5
	v_cmp_lt_i32_e64 s[0:1], v9, v11
	; wave barrier
	s_and_saveexec_b64 s[2:3], s[0:1]
	s_cbranch_execz .LBB5_10
; %bb.7:
	v_lshlrev_b32_e32 v12, 1, v8
	v_lshl_add_u32 v12, v6, 1, v12
	s_mov_b64 s[4:5], 0
.LBB5_8:                                ; =>This Inner Loop Header: Depth=1
	v_sub_u32_e32 v13, v11, v9
	v_lshrrev_b32_e32 v14, 31, v13
	v_add_u32_e32 v13, v13, v14
	v_ashrrev_i32_e32 v13, 1, v13
	v_add_u32_e32 v13, v13, v9
	v_not_b32_e32 v15, v13
	v_lshl_add_u32 v14, v13, 1, v10
	v_lshl_add_u32 v15, v15, 1, v12
	ds_read_u16 v14, v14
	ds_read_u16 v15, v15
	v_add_u32_e32 v16, 1, v13
	s_waitcnt lgkmcnt(1)
	v_lshlrev_b32_e32 v14, 16, v14
	s_waitcnt lgkmcnt(0)
	v_lshlrev_b32_e32 v15, 16, v15
	v_cmp_lt_f32_e64 s[0:1], v15, v14
	v_cndmask_b32_e64 v11, v11, v13, s[0:1]
	v_cndmask_b32_e64 v9, v16, v9, s[0:1]
	v_cmp_ge_i32_e64 s[0:1], v9, v11
	s_or_b64 s[4:5], s[0:1], s[4:5]
	s_andn2_b64 exec, exec, s[4:5]
	s_cbranch_execnz .LBB5_8
; %bb.9:
	s_or_b64 exec, exec, s[4:5]
.LBB5_10:
	s_or_b64 exec, exec, s[2:3]
	v_add_u32_e32 v8, v6, v8
	v_sub_u32_e32 v8, v8, v9
	v_lshl_add_u32 v10, v9, 1, v10
	v_lshlrev_b32_e32 v11, 1, v8
	ds_read_u16 v10, v10
	ds_read_u16 v11, v11
	v_add_u32_e32 v5, v9, v5
	v_cmp_le_i32_e64 s[2:3], v6, v5
	v_cmp_gt_i32_e64 s[0:1], v7, v8
	s_waitcnt lgkmcnt(1)
	v_lshlrev_b32_e32 v5, 16, v10
	s_waitcnt lgkmcnt(0)
	v_lshlrev_b32_e32 v6, 16, v11
	v_cmp_lt_f32_e64 s[4:5], v6, v5
	s_or_b64 s[2:3], s[2:3], s[4:5]
	s_and_b64 s[0:1], s[0:1], s[2:3]
	v_cndmask_b32_e64 v5, v10, v11, s[0:1]
	; wave barrier
	ds_write_b16 v2, v5
	v_and_b32_e32 v5, 24, v4
	v_and_b32_e32 v6, 7, v4
	v_min_i32_e32 v5, s8, v5
	v_min_i32_e32 v8, s8, v6
	v_add_u32_e32 v6, 4, v5
	v_min_i32_e32 v6, s8, v6
	v_add_u32_e32 v7, 4, v6
	v_min_i32_e32 v7, s8, v7
	v_sub_u32_e32 v9, v7, v6
	v_sub_u32_e32 v11, v6, v5
	;; [unrolled: 1-line block ×3, first 2 shown]
	v_cmp_ge_i32_e64 s[0:1], v8, v9
	v_cndmask_b32_e64 v9, 0, v12, s[0:1]
	v_min_i32_e32 v11, v8, v11
	v_lshlrev_b32_e32 v10, 1, v5
	v_cmp_lt_i32_e64 s[0:1], v9, v11
	; wave barrier
	s_and_saveexec_b64 s[2:3], s[0:1]
	s_cbranch_execz .LBB5_14
; %bb.11:
	v_lshlrev_b32_e32 v12, 1, v8
	v_lshl_add_u32 v12, v6, 1, v12
	s_mov_b64 s[4:5], 0
.LBB5_12:                               ; =>This Inner Loop Header: Depth=1
	v_sub_u32_e32 v13, v11, v9
	v_lshrrev_b32_e32 v14, 31, v13
	v_add_u32_e32 v13, v13, v14
	v_ashrrev_i32_e32 v13, 1, v13
	v_add_u32_e32 v13, v13, v9
	v_not_b32_e32 v15, v13
	v_lshl_add_u32 v14, v13, 1, v10
	v_lshl_add_u32 v15, v15, 1, v12
	ds_read_u16 v14, v14
	ds_read_u16 v15, v15
	v_add_u32_e32 v16, 1, v13
	s_waitcnt lgkmcnt(1)
	v_lshlrev_b32_e32 v14, 16, v14
	s_waitcnt lgkmcnt(0)
	v_lshlrev_b32_e32 v15, 16, v15
	v_cmp_lt_f32_e64 s[0:1], v15, v14
	v_cndmask_b32_e64 v11, v11, v13, s[0:1]
	v_cndmask_b32_e64 v9, v16, v9, s[0:1]
	v_cmp_ge_i32_e64 s[0:1], v9, v11
	s_or_b64 s[4:5], s[0:1], s[4:5]
	s_andn2_b64 exec, exec, s[4:5]
	s_cbranch_execnz .LBB5_12
; %bb.13:
	s_or_b64 exec, exec, s[4:5]
.LBB5_14:
	s_or_b64 exec, exec, s[2:3]
	v_add_u32_e32 v8, v6, v8
	v_sub_u32_e32 v8, v8, v9
	v_lshl_add_u32 v10, v9, 1, v10
	v_lshlrev_b32_e32 v11, 1, v8
	ds_read_u16 v10, v10
	ds_read_u16 v11, v11
	v_add_u32_e32 v5, v9, v5
	v_cmp_le_i32_e64 s[2:3], v6, v5
	v_cmp_gt_i32_e64 s[0:1], v7, v8
	s_waitcnt lgkmcnt(1)
	v_lshlrev_b32_e32 v5, 16, v10
	s_waitcnt lgkmcnt(0)
	v_lshlrev_b32_e32 v6, 16, v11
	v_cmp_lt_f32_e64 s[4:5], v6, v5
	s_or_b64 s[2:3], s[2:3], s[4:5]
	s_and_b64 s[0:1], s[0:1], s[2:3]
	v_cndmask_b32_e64 v5, v10, v11, s[0:1]
	; wave barrier
	ds_write_b16 v2, v5
	v_and_b32_e32 v5, 16, v4
	v_and_b32_e32 v4, 15, v4
	v_min_i32_e32 v7, s8, v4
	v_min_i32_e32 v4, s8, v5
	v_add_u32_e32 v5, 8, v4
	v_min_i32_e32 v5, s8, v5
	v_add_u32_e32 v6, 8, v5
	v_min_i32_e32 v6, s8, v6
	v_sub_u32_e32 v8, v6, v5
	v_sub_u32_e32 v10, v5, v4
	v_sub_u32_e32 v11, v7, v8
	v_cmp_ge_i32_e64 s[0:1], v7, v8
	v_cndmask_b32_e64 v8, 0, v11, s[0:1]
	v_min_i32_e32 v10, v7, v10
	v_lshlrev_b32_e32 v9, 1, v4
	v_cmp_lt_i32_e64 s[0:1], v8, v10
	; wave barrier
	s_and_saveexec_b64 s[2:3], s[0:1]
	s_cbranch_execz .LBB5_18
; %bb.15:
	v_lshlrev_b32_e32 v11, 1, v7
	v_lshl_add_u32 v11, v5, 1, v11
	s_mov_b64 s[4:5], 0
.LBB5_16:                               ; =>This Inner Loop Header: Depth=1
	v_sub_u32_e32 v12, v10, v8
	v_lshrrev_b32_e32 v13, 31, v12
	v_add_u32_e32 v12, v12, v13
	v_ashrrev_i32_e32 v12, 1, v12
	v_add_u32_e32 v12, v12, v8
	v_not_b32_e32 v14, v12
	v_lshl_add_u32 v13, v12, 1, v9
	v_lshl_add_u32 v14, v14, 1, v11
	ds_read_u16 v13, v13
	ds_read_u16 v14, v14
	v_add_u32_e32 v15, 1, v12
	s_waitcnt lgkmcnt(1)
	v_lshlrev_b32_e32 v13, 16, v13
	s_waitcnt lgkmcnt(0)
	v_lshlrev_b32_e32 v14, 16, v14
	v_cmp_lt_f32_e64 s[0:1], v14, v13
	v_cndmask_b32_e64 v10, v10, v12, s[0:1]
	v_cndmask_b32_e64 v8, v15, v8, s[0:1]
	v_cmp_ge_i32_e64 s[0:1], v8, v10
	s_or_b64 s[4:5], s[0:1], s[4:5]
	s_andn2_b64 exec, exec, s[4:5]
	s_cbranch_execnz .LBB5_16
; %bb.17:
	s_or_b64 exec, exec, s[4:5]
.LBB5_18:
	s_or_b64 exec, exec, s[2:3]
	v_add_u32_e32 v7, v5, v7
	v_sub_u32_e32 v7, v7, v8
	v_lshl_add_u32 v9, v8, 1, v9
	v_lshlrev_b32_e32 v10, 1, v7
	ds_read_u16 v9, v9
	ds_read_u16 v10, v10
	v_add_u32_e32 v4, v8, v4
	v_cmp_le_i32_e64 s[2:3], v5, v4
	v_cmp_gt_i32_e64 s[0:1], v6, v7
	s_waitcnt lgkmcnt(1)
	v_lshlrev_b32_e32 v4, 16, v9
	s_waitcnt lgkmcnt(0)
	v_lshlrev_b32_e32 v5, 16, v10
	v_cmp_lt_f32_e64 s[4:5], v5, v4
	s_or_b64 s[2:3], s[2:3], s[4:5]
	s_and_b64 s[0:1], s[0:1], s[2:3]
	v_cndmask_b32_e64 v4, v9, v10, s[0:1]
	v_min_i32_e32 v7, s8, v3
	v_min_i32_e64 v3, s8, 0
	; wave barrier
	ds_write_b16 v2, v4
	v_add_u32_e32 v4, 16, v3
	v_min_i32_e32 v4, s8, v4
	v_add_u32_e32 v5, 16, v4
	v_min_i32_e32 v5, s8, v5
	v_sub_u32_e32 v6, v5, v4
	v_sub_u32_e32 v9, v4, v3
	;; [unrolled: 1-line block ×3, first 2 shown]
	v_cmp_ge_i32_e64 s[0:1], v7, v6
	v_cndmask_b32_e64 v6, 0, v10, s[0:1]
	v_min_i32_e32 v9, v7, v9
	v_lshlrev_b32_e32 v8, 1, v3
	v_cmp_lt_i32_e64 s[0:1], v6, v9
	; wave barrier
	s_and_saveexec_b64 s[2:3], s[0:1]
	s_cbranch_execnz .LBB5_21
; %bb.19:
	s_or_b64 exec, exec, s[2:3]
	s_and_saveexec_b64 s[0:1], vcc
	s_cbranch_execnz .LBB5_24
.LBB5_20:
	s_endpgm
.LBB5_21:
	v_lshlrev_b32_e32 v10, 1, v7
	v_lshl_add_u32 v10, v4, 1, v10
	s_mov_b64 s[4:5], 0
.LBB5_22:                               ; =>This Inner Loop Header: Depth=1
	v_sub_u32_e32 v11, v9, v6
	v_lshrrev_b32_e32 v12, 31, v11
	v_add_u32_e32 v11, v11, v12
	v_ashrrev_i32_e32 v11, 1, v11
	v_add_u32_e32 v11, v11, v6
	v_not_b32_e32 v13, v11
	v_lshl_add_u32 v12, v11, 1, v8
	v_lshl_add_u32 v13, v13, 1, v10
	ds_read_u16 v12, v12
	ds_read_u16 v13, v13
	v_add_u32_e32 v14, 1, v11
	s_waitcnt lgkmcnt(1)
	v_lshlrev_b32_e32 v12, 16, v12
	s_waitcnt lgkmcnt(0)
	v_lshlrev_b32_e32 v13, 16, v13
	v_cmp_lt_f32_e64 s[0:1], v13, v12
	v_cndmask_b32_e64 v9, v9, v11, s[0:1]
	v_cndmask_b32_e64 v6, v14, v6, s[0:1]
	v_cmp_ge_i32_e64 s[0:1], v6, v9
	s_or_b64 s[4:5], s[0:1], s[4:5]
	s_andn2_b64 exec, exec, s[4:5]
	s_cbranch_execnz .LBB5_22
; %bb.23:
	s_or_b64 exec, exec, s[4:5]
	s_or_b64 exec, exec, s[2:3]
	s_and_saveexec_b64 s[0:1], vcc
	s_cbranch_execz .LBB5_20
.LBB5_24:
	v_add_u32_e32 v7, v4, v7
	v_sub_u32_e32 v7, v7, v6
	v_lshlrev_b32_e32 v9, 1, v7
	v_lshl_add_u32 v8, v6, 1, v8
	ds_read_u16 v9, v9
	ds_read_u16 v8, v8
	v_add_co_u32_e32 v0, vcc, v0, v2
	v_add_u32_e32 v2, v6, v3
	v_cmp_le_i32_e64 s[0:1], v4, v2
	s_waitcnt lgkmcnt(0)
	v_lshlrev_b32_e32 v2, 16, v8
	v_lshlrev_b32_e32 v3, 16, v9
	v_addc_co_u32_e32 v1, vcc, 0, v1, vcc
	v_cmp_lt_f32_e64 s[2:3], v3, v2
	v_cmp_gt_i32_e32 vcc, v5, v7
	s_or_b64 s[0:1], s[0:1], s[2:3]
	s_and_b64 vcc, vcc, s[0:1]
	v_cndmask_b32_e32 v2, v8, v9, vcc
	global_store_short v[0:1], v2, off
	s_endpgm
	.section	.rodata,"a",@progbits
	.p2align	6, 0x0
	.amdhsa_kernel _Z19sort_keys_segmentedILj32ELj32ELj1ELb0E12hip_bfloat16N10test_utils4lessEEvPT3_PKjT4_
		.amdhsa_group_segment_fixed_size 66
		.amdhsa_private_segment_fixed_size 0
		.amdhsa_kernarg_size 20
		.amdhsa_user_sgpr_count 6
		.amdhsa_user_sgpr_private_segment_buffer 1
		.amdhsa_user_sgpr_dispatch_ptr 0
		.amdhsa_user_sgpr_queue_ptr 0
		.amdhsa_user_sgpr_kernarg_segment_ptr 1
		.amdhsa_user_sgpr_dispatch_id 0
		.amdhsa_user_sgpr_flat_scratch_init 0
		.amdhsa_user_sgpr_kernarg_preload_length 0
		.amdhsa_user_sgpr_kernarg_preload_offset 0
		.amdhsa_user_sgpr_private_segment_size 0
		.amdhsa_uses_dynamic_stack 0
		.amdhsa_system_sgpr_private_segment_wavefront_offset 0
		.amdhsa_system_sgpr_workgroup_id_x 1
		.amdhsa_system_sgpr_workgroup_id_y 0
		.amdhsa_system_sgpr_workgroup_id_z 0
		.amdhsa_system_sgpr_workgroup_info 0
		.amdhsa_system_vgpr_workitem_id 0
		.amdhsa_next_free_vgpr 17
		.amdhsa_next_free_sgpr 9
		.amdhsa_accum_offset 20
		.amdhsa_reserve_vcc 1
		.amdhsa_reserve_flat_scratch 0
		.amdhsa_float_round_mode_32 0
		.amdhsa_float_round_mode_16_64 0
		.amdhsa_float_denorm_mode_32 3
		.amdhsa_float_denorm_mode_16_64 3
		.amdhsa_dx10_clamp 1
		.amdhsa_ieee_mode 1
		.amdhsa_fp16_overflow 0
		.amdhsa_tg_split 0
		.amdhsa_exception_fp_ieee_invalid_op 0
		.amdhsa_exception_fp_denorm_src 0
		.amdhsa_exception_fp_ieee_div_zero 0
		.amdhsa_exception_fp_ieee_overflow 0
		.amdhsa_exception_fp_ieee_underflow 0
		.amdhsa_exception_fp_ieee_inexact 0
		.amdhsa_exception_int_div_zero 0
	.end_amdhsa_kernel
	.section	.text._Z19sort_keys_segmentedILj32ELj32ELj1ELb0E12hip_bfloat16N10test_utils4lessEEvPT3_PKjT4_,"axG",@progbits,_Z19sort_keys_segmentedILj32ELj32ELj1ELb0E12hip_bfloat16N10test_utils4lessEEvPT3_PKjT4_,comdat
.Lfunc_end5:
	.size	_Z19sort_keys_segmentedILj32ELj32ELj1ELb0E12hip_bfloat16N10test_utils4lessEEvPT3_PKjT4_, .Lfunc_end5-_Z19sort_keys_segmentedILj32ELj32ELj1ELb0E12hip_bfloat16N10test_utils4lessEEvPT3_PKjT4_
                                        ; -- End function
	.section	.AMDGPU.csdata,"",@progbits
; Kernel info:
; codeLenInByte = 1820
; NumSgprs: 13
; NumVgprs: 17
; NumAgprs: 0
; TotalNumVgprs: 17
; ScratchSize: 0
; MemoryBound: 0
; FloatMode: 240
; IeeeMode: 1
; LDSByteSize: 66 bytes/workgroup (compile time only)
; SGPRBlocks: 1
; VGPRBlocks: 2
; NumSGPRsForWavesPerEU: 13
; NumVGPRsForWavesPerEU: 17
; AccumOffset: 20
; Occupancy: 8
; WaveLimiterHint : 0
; COMPUTE_PGM_RSRC2:SCRATCH_EN: 0
; COMPUTE_PGM_RSRC2:USER_SGPR: 6
; COMPUTE_PGM_RSRC2:TRAP_HANDLER: 0
; COMPUTE_PGM_RSRC2:TGID_X_EN: 1
; COMPUTE_PGM_RSRC2:TGID_Y_EN: 0
; COMPUTE_PGM_RSRC2:TGID_Z_EN: 0
; COMPUTE_PGM_RSRC2:TIDIG_COMP_CNT: 0
; COMPUTE_PGM_RSRC3_GFX90A:ACCUM_OFFSET: 4
; COMPUTE_PGM_RSRC3_GFX90A:TG_SPLIT: 0
	.section	.text._Z19sort_keys_segmentedILj32ELj32ELj1ELb0E6__halfN10test_utils4lessEEvPT3_PKjT4_,"axG",@progbits,_Z19sort_keys_segmentedILj32ELj32ELj1ELb0E6__halfN10test_utils4lessEEvPT3_PKjT4_,comdat
	.protected	_Z19sort_keys_segmentedILj32ELj32ELj1ELb0E6__halfN10test_utils4lessEEvPT3_PKjT4_ ; -- Begin function _Z19sort_keys_segmentedILj32ELj32ELj1ELb0E6__halfN10test_utils4lessEEvPT3_PKjT4_
	.globl	_Z19sort_keys_segmentedILj32ELj32ELj1ELb0E6__halfN10test_utils4lessEEvPT3_PKjT4_
	.p2align	8
	.type	_Z19sort_keys_segmentedILj32ELj32ELj1ELb0E6__halfN10test_utils4lessEEvPT3_PKjT4_,@function
_Z19sort_keys_segmentedILj32ELj32ELj1ELb0E6__halfN10test_utils4lessEEvPT3_PKjT4_: ; @_Z19sort_keys_segmentedILj32ELj32ELj1ELb0E6__halfN10test_utils4lessEEvPT3_PKjT4_
; %bb.0:
	s_load_dwordx4 s[0:3], s[4:5], 0x0
	s_mov_b32 s7, 0
	s_lshl_b64 s[4:5], s[6:7], 2
	v_mbcnt_lo_u32_b32 v0, -1, 0
	v_mbcnt_hi_u32_b32 v4, -1, v0
	s_waitcnt lgkmcnt(0)
	s_add_u32 s2, s2, s4
	s_addc_u32 s3, s3, s5
	s_load_dword s8, s[2:3], 0x0
	s_lshl_b32 s6, s6, 5
	s_lshl_b64 s[2:3], s[6:7], 1
	s_add_u32 s0, s0, s2
	v_and_b32_e32 v3, 31, v4
	s_addc_u32 s1, s1, s3
	v_pk_mov_b32 v[0:1], s[0:1], s[0:1] op_sel:[0,1]
	s_waitcnt lgkmcnt(0)
	v_cmp_gt_u32_e32 vcc, s8, v3
	v_lshlrev_b32_e32 v2, 1, v3
                                        ; implicit-def: $vgpr5
	s_and_saveexec_b64 s[2:3], vcc
	s_cbranch_execz .LBB6_2
; %bb.1:
	v_add_co_u32_e64 v6, s[0:1], v0, v2
	v_addc_co_u32_e64 v7, s[0:1], 0, v1, s[0:1]
	global_load_ushort v5, v[6:7], off
.LBB6_2:
	s_or_b64 exec, exec, s[2:3]
	; wave barrier
	s_waitcnt vmcnt(0)
	ds_write_b16 v2, v5
	v_and_b32_e32 v5, 30, v4
	v_and_b32_e32 v6, 1, v4
	v_min_i32_e32 v5, s8, v5
	v_min_i32_e32 v8, s8, v6
	v_add_u32_e32 v6, 1, v5
	v_min_i32_e32 v6, s8, v6
	v_add_u32_e32 v7, 1, v6
	v_min_i32_e32 v7, s8, v7
	v_sub_u32_e32 v9, v7, v6
	v_sub_u32_e32 v11, v6, v5
	v_sub_u32_e32 v12, v8, v9
	v_cmp_ge_i32_e64 s[0:1], v8, v9
	v_cndmask_b32_e64 v9, 0, v12, s[0:1]
	v_min_i32_e32 v11, v8, v11
	v_lshlrev_b32_e32 v10, 1, v5
	v_cmp_lt_i32_e64 s[0:1], v9, v11
	; wave barrier
	s_and_saveexec_b64 s[2:3], s[0:1]
	s_cbranch_execz .LBB6_6
; %bb.3:
	v_lshlrev_b32_e32 v12, 1, v8
	v_lshl_add_u32 v12, v6, 1, v12
	s_mov_b64 s[4:5], 0
.LBB6_4:                                ; =>This Inner Loop Header: Depth=1
	v_sub_u32_e32 v13, v11, v9
	v_lshrrev_b32_e32 v14, 31, v13
	v_add_u32_e32 v13, v13, v14
	v_ashrrev_i32_e32 v13, 1, v13
	v_add_u32_e32 v13, v13, v9
	v_not_b32_e32 v15, v13
	v_lshl_add_u32 v14, v13, 1, v10
	v_lshl_add_u32 v15, v15, 1, v12
	ds_read_u16 v14, v14
	ds_read_u16 v15, v15
	v_add_u32_e32 v16, 1, v13
	s_waitcnt lgkmcnt(0)
	v_cmp_lt_f16_e64 s[0:1], v15, v14
	v_cndmask_b32_e64 v11, v11, v13, s[0:1]
	v_cndmask_b32_e64 v9, v16, v9, s[0:1]
	v_cmp_ge_i32_e64 s[0:1], v9, v11
	s_or_b64 s[4:5], s[0:1], s[4:5]
	s_andn2_b64 exec, exec, s[4:5]
	s_cbranch_execnz .LBB6_4
; %bb.5:
	s_or_b64 exec, exec, s[4:5]
.LBB6_6:
	s_or_b64 exec, exec, s[2:3]
	v_add_u32_e32 v8, v6, v8
	v_sub_u32_e32 v8, v8, v9
	v_lshl_add_u32 v10, v9, 1, v10
	v_lshlrev_b32_e32 v11, 1, v8
	ds_read_u16 v10, v10
	ds_read_u16 v11, v11
	v_add_u32_e32 v5, v9, v5
	v_cmp_le_i32_e64 s[2:3], v6, v5
	v_cmp_gt_i32_e64 s[0:1], v7, v8
	s_waitcnt lgkmcnt(0)
	v_cmp_lt_f16_e64 s[4:5], v11, v10
	s_or_b64 s[2:3], s[2:3], s[4:5]
	s_and_b64 s[0:1], s[0:1], s[2:3]
	v_cndmask_b32_e64 v5, v10, v11, s[0:1]
	; wave barrier
	ds_write_b16 v2, v5
	v_and_b32_e32 v5, 28, v4
	v_and_b32_e32 v6, 3, v4
	v_min_i32_e32 v5, s8, v5
	v_min_i32_e32 v8, s8, v6
	v_add_u32_e32 v6, 2, v5
	v_min_i32_e32 v6, s8, v6
	v_add_u32_e32 v7, 2, v6
	v_min_i32_e32 v7, s8, v7
	v_sub_u32_e32 v9, v7, v6
	v_sub_u32_e32 v11, v6, v5
	;; [unrolled: 1-line block ×3, first 2 shown]
	v_cmp_ge_i32_e64 s[0:1], v8, v9
	v_cndmask_b32_e64 v9, 0, v12, s[0:1]
	v_min_i32_e32 v11, v8, v11
	v_lshlrev_b32_e32 v10, 1, v5
	v_cmp_lt_i32_e64 s[0:1], v9, v11
	; wave barrier
	s_and_saveexec_b64 s[2:3], s[0:1]
	s_cbranch_execz .LBB6_10
; %bb.7:
	v_lshlrev_b32_e32 v12, 1, v8
	v_lshl_add_u32 v12, v6, 1, v12
	s_mov_b64 s[4:5], 0
.LBB6_8:                                ; =>This Inner Loop Header: Depth=1
	v_sub_u32_e32 v13, v11, v9
	v_lshrrev_b32_e32 v14, 31, v13
	v_add_u32_e32 v13, v13, v14
	v_ashrrev_i32_e32 v13, 1, v13
	v_add_u32_e32 v13, v13, v9
	v_not_b32_e32 v15, v13
	v_lshl_add_u32 v14, v13, 1, v10
	v_lshl_add_u32 v15, v15, 1, v12
	ds_read_u16 v14, v14
	ds_read_u16 v15, v15
	v_add_u32_e32 v16, 1, v13
	s_waitcnt lgkmcnt(0)
	v_cmp_lt_f16_e64 s[0:1], v15, v14
	v_cndmask_b32_e64 v11, v11, v13, s[0:1]
	v_cndmask_b32_e64 v9, v16, v9, s[0:1]
	v_cmp_ge_i32_e64 s[0:1], v9, v11
	s_or_b64 s[4:5], s[0:1], s[4:5]
	s_andn2_b64 exec, exec, s[4:5]
	s_cbranch_execnz .LBB6_8
; %bb.9:
	s_or_b64 exec, exec, s[4:5]
.LBB6_10:
	s_or_b64 exec, exec, s[2:3]
	v_add_u32_e32 v8, v6, v8
	v_sub_u32_e32 v8, v8, v9
	v_lshl_add_u32 v10, v9, 1, v10
	v_lshlrev_b32_e32 v11, 1, v8
	ds_read_u16 v10, v10
	ds_read_u16 v11, v11
	v_add_u32_e32 v5, v9, v5
	v_cmp_le_i32_e64 s[2:3], v6, v5
	v_cmp_gt_i32_e64 s[0:1], v7, v8
	s_waitcnt lgkmcnt(0)
	v_cmp_lt_f16_e64 s[4:5], v11, v10
	s_or_b64 s[2:3], s[2:3], s[4:5]
	s_and_b64 s[0:1], s[0:1], s[2:3]
	v_cndmask_b32_e64 v5, v10, v11, s[0:1]
	; wave barrier
	ds_write_b16 v2, v5
	v_and_b32_e32 v5, 24, v4
	v_and_b32_e32 v6, 7, v4
	v_min_i32_e32 v5, s8, v5
	v_min_i32_e32 v8, s8, v6
	v_add_u32_e32 v6, 4, v5
	v_min_i32_e32 v6, s8, v6
	v_add_u32_e32 v7, 4, v6
	v_min_i32_e32 v7, s8, v7
	v_sub_u32_e32 v9, v7, v6
	v_sub_u32_e32 v11, v6, v5
	;; [unrolled: 1-line block ×3, first 2 shown]
	v_cmp_ge_i32_e64 s[0:1], v8, v9
	v_cndmask_b32_e64 v9, 0, v12, s[0:1]
	v_min_i32_e32 v11, v8, v11
	v_lshlrev_b32_e32 v10, 1, v5
	v_cmp_lt_i32_e64 s[0:1], v9, v11
	; wave barrier
	s_and_saveexec_b64 s[2:3], s[0:1]
	s_cbranch_execz .LBB6_14
; %bb.11:
	v_lshlrev_b32_e32 v12, 1, v8
	v_lshl_add_u32 v12, v6, 1, v12
	s_mov_b64 s[4:5], 0
.LBB6_12:                               ; =>This Inner Loop Header: Depth=1
	v_sub_u32_e32 v13, v11, v9
	v_lshrrev_b32_e32 v14, 31, v13
	v_add_u32_e32 v13, v13, v14
	v_ashrrev_i32_e32 v13, 1, v13
	v_add_u32_e32 v13, v13, v9
	v_not_b32_e32 v15, v13
	v_lshl_add_u32 v14, v13, 1, v10
	v_lshl_add_u32 v15, v15, 1, v12
	ds_read_u16 v14, v14
	ds_read_u16 v15, v15
	v_add_u32_e32 v16, 1, v13
	s_waitcnt lgkmcnt(0)
	v_cmp_lt_f16_e64 s[0:1], v15, v14
	v_cndmask_b32_e64 v11, v11, v13, s[0:1]
	v_cndmask_b32_e64 v9, v16, v9, s[0:1]
	v_cmp_ge_i32_e64 s[0:1], v9, v11
	s_or_b64 s[4:5], s[0:1], s[4:5]
	s_andn2_b64 exec, exec, s[4:5]
	s_cbranch_execnz .LBB6_12
; %bb.13:
	s_or_b64 exec, exec, s[4:5]
.LBB6_14:
	s_or_b64 exec, exec, s[2:3]
	v_add_u32_e32 v8, v6, v8
	v_sub_u32_e32 v8, v8, v9
	v_lshl_add_u32 v10, v9, 1, v10
	v_lshlrev_b32_e32 v11, 1, v8
	ds_read_u16 v10, v10
	ds_read_u16 v11, v11
	v_add_u32_e32 v5, v9, v5
	v_cmp_le_i32_e64 s[2:3], v6, v5
	v_cmp_gt_i32_e64 s[0:1], v7, v8
	s_waitcnt lgkmcnt(0)
	v_cmp_lt_f16_e64 s[4:5], v11, v10
	s_or_b64 s[2:3], s[2:3], s[4:5]
	s_and_b64 s[0:1], s[0:1], s[2:3]
	v_cndmask_b32_e64 v5, v10, v11, s[0:1]
	; wave barrier
	ds_write_b16 v2, v5
	v_and_b32_e32 v5, 16, v4
	v_and_b32_e32 v4, 15, v4
	v_min_i32_e32 v7, s8, v4
	v_min_i32_e32 v4, s8, v5
	v_add_u32_e32 v5, 8, v4
	v_min_i32_e32 v5, s8, v5
	v_add_u32_e32 v6, 8, v5
	v_min_i32_e32 v6, s8, v6
	v_sub_u32_e32 v8, v6, v5
	v_sub_u32_e32 v10, v5, v4
	;; [unrolled: 1-line block ×3, first 2 shown]
	v_cmp_ge_i32_e64 s[0:1], v7, v8
	v_cndmask_b32_e64 v8, 0, v11, s[0:1]
	v_min_i32_e32 v10, v7, v10
	v_lshlrev_b32_e32 v9, 1, v4
	v_cmp_lt_i32_e64 s[0:1], v8, v10
	; wave barrier
	s_and_saveexec_b64 s[2:3], s[0:1]
	s_cbranch_execz .LBB6_18
; %bb.15:
	v_lshlrev_b32_e32 v11, 1, v7
	v_lshl_add_u32 v11, v5, 1, v11
	s_mov_b64 s[4:5], 0
.LBB6_16:                               ; =>This Inner Loop Header: Depth=1
	v_sub_u32_e32 v12, v10, v8
	v_lshrrev_b32_e32 v13, 31, v12
	v_add_u32_e32 v12, v12, v13
	v_ashrrev_i32_e32 v12, 1, v12
	v_add_u32_e32 v12, v12, v8
	v_not_b32_e32 v14, v12
	v_lshl_add_u32 v13, v12, 1, v9
	v_lshl_add_u32 v14, v14, 1, v11
	ds_read_u16 v13, v13
	ds_read_u16 v14, v14
	v_add_u32_e32 v15, 1, v12
	s_waitcnt lgkmcnt(0)
	v_cmp_lt_f16_e64 s[0:1], v14, v13
	v_cndmask_b32_e64 v10, v10, v12, s[0:1]
	v_cndmask_b32_e64 v8, v15, v8, s[0:1]
	v_cmp_ge_i32_e64 s[0:1], v8, v10
	s_or_b64 s[4:5], s[0:1], s[4:5]
	s_andn2_b64 exec, exec, s[4:5]
	s_cbranch_execnz .LBB6_16
; %bb.17:
	s_or_b64 exec, exec, s[4:5]
.LBB6_18:
	s_or_b64 exec, exec, s[2:3]
	v_add_u32_e32 v7, v5, v7
	v_sub_u32_e32 v7, v7, v8
	v_lshl_add_u32 v9, v8, 1, v9
	v_lshlrev_b32_e32 v10, 1, v7
	ds_read_u16 v9, v9
	ds_read_u16 v10, v10
	v_add_u32_e32 v4, v8, v4
	v_cmp_le_i32_e64 s[2:3], v5, v4
	v_cmp_gt_i32_e64 s[0:1], v6, v7
	v_min_i32_e32 v7, s8, v3
	s_waitcnt lgkmcnt(0)
	v_cmp_lt_f16_e64 s[4:5], v10, v9
	s_or_b64 s[2:3], s[2:3], s[4:5]
	s_and_b64 s[0:1], s[0:1], s[2:3]
	v_cndmask_b32_e64 v4, v9, v10, s[0:1]
	v_min_i32_e64 v3, s8, 0
	; wave barrier
	ds_write_b16 v2, v4
	v_add_u32_e32 v4, 16, v3
	v_min_i32_e32 v4, s8, v4
	v_add_u32_e32 v5, 16, v4
	v_min_i32_e32 v5, s8, v5
	v_sub_u32_e32 v6, v5, v4
	v_sub_u32_e32 v9, v4, v3
	;; [unrolled: 1-line block ×3, first 2 shown]
	v_cmp_ge_i32_e64 s[0:1], v7, v6
	v_cndmask_b32_e64 v6, 0, v10, s[0:1]
	v_min_i32_e32 v9, v7, v9
	v_lshlrev_b32_e32 v8, 1, v3
	v_cmp_lt_i32_e64 s[0:1], v6, v9
	; wave barrier
	s_and_saveexec_b64 s[2:3], s[0:1]
	s_cbranch_execnz .LBB6_21
; %bb.19:
	s_or_b64 exec, exec, s[2:3]
	s_and_saveexec_b64 s[0:1], vcc
	s_cbranch_execnz .LBB6_24
.LBB6_20:
	s_endpgm
.LBB6_21:
	v_lshlrev_b32_e32 v10, 1, v7
	v_lshl_add_u32 v10, v4, 1, v10
	s_mov_b64 s[4:5], 0
.LBB6_22:                               ; =>This Inner Loop Header: Depth=1
	v_sub_u32_e32 v11, v9, v6
	v_lshrrev_b32_e32 v12, 31, v11
	v_add_u32_e32 v11, v11, v12
	v_ashrrev_i32_e32 v11, 1, v11
	v_add_u32_e32 v11, v11, v6
	v_not_b32_e32 v13, v11
	v_lshl_add_u32 v12, v11, 1, v8
	v_lshl_add_u32 v13, v13, 1, v10
	ds_read_u16 v12, v12
	ds_read_u16 v13, v13
	v_add_u32_e32 v14, 1, v11
	s_waitcnt lgkmcnt(0)
	v_cmp_lt_f16_e64 s[0:1], v13, v12
	v_cndmask_b32_e64 v9, v9, v11, s[0:1]
	v_cndmask_b32_e64 v6, v14, v6, s[0:1]
	v_cmp_ge_i32_e64 s[0:1], v6, v9
	s_or_b64 s[4:5], s[0:1], s[4:5]
	s_andn2_b64 exec, exec, s[4:5]
	s_cbranch_execnz .LBB6_22
; %bb.23:
	s_or_b64 exec, exec, s[4:5]
	s_or_b64 exec, exec, s[2:3]
	s_and_saveexec_b64 s[0:1], vcc
	s_cbranch_execz .LBB6_20
.LBB6_24:
	v_add_u32_e32 v7, v4, v7
	v_sub_u32_e32 v7, v7, v6
	v_lshlrev_b32_e32 v9, 1, v7
	v_lshl_add_u32 v8, v6, 1, v8
	ds_read_u16 v9, v9
	ds_read_u16 v8, v8
	v_add_co_u32_e32 v0, vcc, v0, v2
	v_add_u32_e32 v2, v6, v3
	v_addc_co_u32_e32 v1, vcc, 0, v1, vcc
	v_cmp_le_i32_e64 s[0:1], v4, v2
	s_waitcnt lgkmcnt(0)
	v_cmp_lt_f16_e64 s[2:3], v9, v8
	v_cmp_gt_i32_e32 vcc, v5, v7
	s_or_b64 s[0:1], s[0:1], s[2:3]
	s_and_b64 vcc, vcc, s[0:1]
	v_cndmask_b32_e32 v2, v8, v9, vcc
	global_store_short v[0:1], v2, off
	s_endpgm
	.section	.rodata,"a",@progbits
	.p2align	6, 0x0
	.amdhsa_kernel _Z19sort_keys_segmentedILj32ELj32ELj1ELb0E6__halfN10test_utils4lessEEvPT3_PKjT4_
		.amdhsa_group_segment_fixed_size 66
		.amdhsa_private_segment_fixed_size 0
		.amdhsa_kernarg_size 20
		.amdhsa_user_sgpr_count 6
		.amdhsa_user_sgpr_private_segment_buffer 1
		.amdhsa_user_sgpr_dispatch_ptr 0
		.amdhsa_user_sgpr_queue_ptr 0
		.amdhsa_user_sgpr_kernarg_segment_ptr 1
		.amdhsa_user_sgpr_dispatch_id 0
		.amdhsa_user_sgpr_flat_scratch_init 0
		.amdhsa_user_sgpr_kernarg_preload_length 0
		.amdhsa_user_sgpr_kernarg_preload_offset 0
		.amdhsa_user_sgpr_private_segment_size 0
		.amdhsa_uses_dynamic_stack 0
		.amdhsa_system_sgpr_private_segment_wavefront_offset 0
		.amdhsa_system_sgpr_workgroup_id_x 1
		.amdhsa_system_sgpr_workgroup_id_y 0
		.amdhsa_system_sgpr_workgroup_id_z 0
		.amdhsa_system_sgpr_workgroup_info 0
		.amdhsa_system_vgpr_workitem_id 0
		.amdhsa_next_free_vgpr 17
		.amdhsa_next_free_sgpr 9
		.amdhsa_accum_offset 20
		.amdhsa_reserve_vcc 1
		.amdhsa_reserve_flat_scratch 0
		.amdhsa_float_round_mode_32 0
		.amdhsa_float_round_mode_16_64 0
		.amdhsa_float_denorm_mode_32 3
		.amdhsa_float_denorm_mode_16_64 3
		.amdhsa_dx10_clamp 1
		.amdhsa_ieee_mode 1
		.amdhsa_fp16_overflow 0
		.amdhsa_tg_split 0
		.amdhsa_exception_fp_ieee_invalid_op 0
		.amdhsa_exception_fp_denorm_src 0
		.amdhsa_exception_fp_ieee_div_zero 0
		.amdhsa_exception_fp_ieee_overflow 0
		.amdhsa_exception_fp_ieee_underflow 0
		.amdhsa_exception_fp_ieee_inexact 0
		.amdhsa_exception_int_div_zero 0
	.end_amdhsa_kernel
	.section	.text._Z19sort_keys_segmentedILj32ELj32ELj1ELb0E6__halfN10test_utils4lessEEvPT3_PKjT4_,"axG",@progbits,_Z19sort_keys_segmentedILj32ELj32ELj1ELb0E6__halfN10test_utils4lessEEvPT3_PKjT4_,comdat
.Lfunc_end6:
	.size	_Z19sort_keys_segmentedILj32ELj32ELj1ELb0E6__halfN10test_utils4lessEEvPT3_PKjT4_, .Lfunc_end6-_Z19sort_keys_segmentedILj32ELj32ELj1ELb0E6__halfN10test_utils4lessEEvPT3_PKjT4_
                                        ; -- End function
	.section	.AMDGPU.csdata,"",@progbits
; Kernel info:
; codeLenInByte = 1704
; NumSgprs: 13
; NumVgprs: 17
; NumAgprs: 0
; TotalNumVgprs: 17
; ScratchSize: 0
; MemoryBound: 0
; FloatMode: 240
; IeeeMode: 1
; LDSByteSize: 66 bytes/workgroup (compile time only)
; SGPRBlocks: 1
; VGPRBlocks: 2
; NumSGPRsForWavesPerEU: 13
; NumVGPRsForWavesPerEU: 17
; AccumOffset: 20
; Occupancy: 8
; WaveLimiterHint : 0
; COMPUTE_PGM_RSRC2:SCRATCH_EN: 0
; COMPUTE_PGM_RSRC2:USER_SGPR: 6
; COMPUTE_PGM_RSRC2:TRAP_HANDLER: 0
; COMPUTE_PGM_RSRC2:TGID_X_EN: 1
; COMPUTE_PGM_RSRC2:TGID_Y_EN: 0
; COMPUTE_PGM_RSRC2:TGID_Z_EN: 0
; COMPUTE_PGM_RSRC2:TIDIG_COMP_CNT: 0
; COMPUTE_PGM_RSRC3_GFX90A:ACCUM_OFFSET: 4
; COMPUTE_PGM_RSRC3_GFX90A:TG_SPLIT: 0
	.section	.text._Z19sort_keys_segmentedILj512ELj64ELj1ELb0EsN10test_utils4lessEEvPT3_PKjT4_,"axG",@progbits,_Z19sort_keys_segmentedILj512ELj64ELj1ELb0EsN10test_utils4lessEEvPT3_PKjT4_,comdat
	.protected	_Z19sort_keys_segmentedILj512ELj64ELj1ELb0EsN10test_utils4lessEEvPT3_PKjT4_ ; -- Begin function _Z19sort_keys_segmentedILj512ELj64ELj1ELb0EsN10test_utils4lessEEvPT3_PKjT4_
	.globl	_Z19sort_keys_segmentedILj512ELj64ELj1ELb0EsN10test_utils4lessEEvPT3_PKjT4_
	.p2align	8
	.type	_Z19sort_keys_segmentedILj512ELj64ELj1ELb0EsN10test_utils4lessEEvPT3_PKjT4_,@function
_Z19sort_keys_segmentedILj512ELj64ELj1ELb0EsN10test_utils4lessEEvPT3_PKjT4_: ; @_Z19sort_keys_segmentedILj512ELj64ELj1ELb0EsN10test_utils4lessEEvPT3_PKjT4_
; %bb.0:
	s_load_dwordx4 s[0:3], s[4:5], 0x0
	v_lshrrev_b32_e32 v11, 6, v0
	v_lshl_or_b32 v0, s6, 3, v11
	v_mov_b32_e32 v1, 0
	v_lshlrev_b64 v[2:3], 2, v[0:1]
	s_waitcnt lgkmcnt(0)
	v_mov_b32_e32 v4, s3
	v_add_co_u32_e32 v2, vcc, s2, v2
	v_addc_co_u32_e32 v3, vcc, v4, v3, vcc
	global_load_dword v4, v[2:3], off
	v_lshlrev_b32_e32 v0, 6, v0
	v_mbcnt_lo_u32_b32 v2, -1, 0
	v_lshlrev_b64 v[0:1], 1, v[0:1]
	v_mbcnt_hi_u32_b32 v5, -1, v2
	v_mov_b32_e32 v2, s1
	v_add_co_u32_e32 v0, vcc, s0, v0
	v_addc_co_u32_e32 v1, vcc, v2, v1, vcc
	v_lshlrev_b32_e32 v2, 1, v5
                                        ; implicit-def: $vgpr7
	s_waitcnt vmcnt(0)
	v_cmp_lt_u32_e32 vcc, v5, v4
	s_and_saveexec_b64 s[2:3], vcc
	s_cbranch_execz .LBB7_2
; %bb.1:
	v_add_co_u32_e64 v6, s[0:1], v0, v2
	v_addc_co_u32_e64 v7, s[0:1], 0, v1, s[0:1]
	global_load_ushort v7, v[6:7], off
.LBB7_2:
	s_or_b64 exec, exec, s[2:3]
	s_movk_i32 s0, 0x82
	v_mad_u32_u24 v6, v11, s0, v2
	; wave barrier
	s_waitcnt vmcnt(0)
	ds_write_b16 v6, v7
	v_and_b32_e32 v7, 0x7e, v5
	v_and_b32_e32 v8, 1, v5
	v_min_i32_e32 v7, v4, v7
	v_min_i32_e32 v10, v4, v8
	v_add_u32_e32 v8, 1, v7
	v_min_i32_e32 v8, v4, v8
	v_add_u32_e32 v9, 1, v8
	v_min_i32_e32 v9, v4, v9
	v_sub_u32_e32 v14, v9, v8
	v_lshlrev_b32_e32 v12, 1, v7
	v_mul_u32_u24_e32 v3, 0x82, v11
	v_sub_u32_e32 v13, v8, v7
	v_mad_u32_u24 v12, v11, s0, v12
	v_sub_u32_e32 v11, v10, v14
	v_cmp_ge_i32_e64 s[0:1], v10, v14
	v_cndmask_b32_e64 v11, 0, v11, s[0:1]
	v_min_i32_e32 v13, v10, v13
	v_cmp_lt_i32_e64 s[0:1], v11, v13
	; wave barrier
	s_and_saveexec_b64 s[2:3], s[0:1]
	s_cbranch_execz .LBB7_6
; %bb.3:
	v_lshlrev_b32_e32 v14, 1, v8
	v_lshlrev_b32_e32 v15, 1, v10
	v_add3_u32 v14, v3, v14, v15
	s_mov_b64 s[4:5], 0
.LBB7_4:                                ; =>This Inner Loop Header: Depth=1
	v_sub_u32_e32 v15, v13, v11
	v_lshrrev_b32_e32 v16, 31, v15
	v_add_u32_e32 v15, v15, v16
	v_ashrrev_i32_e32 v15, 1, v15
	v_add_u32_e32 v15, v15, v11
	v_not_b32_e32 v17, v15
	v_lshl_add_u32 v16, v15, 1, v12
	v_lshl_add_u32 v17, v17, 1, v14
	ds_read_u16 v16, v16
	ds_read_u16 v17, v17
	v_add_u32_e32 v18, 1, v15
	s_waitcnt lgkmcnt(0)
	v_cmp_lt_i16_e64 s[0:1], v17, v16
	v_cndmask_b32_e64 v13, v13, v15, s[0:1]
	v_cndmask_b32_e64 v11, v18, v11, s[0:1]
	v_cmp_ge_i32_e64 s[0:1], v11, v13
	s_or_b64 s[4:5], s[0:1], s[4:5]
	s_andn2_b64 exec, exec, s[4:5]
	s_cbranch_execnz .LBB7_4
; %bb.5:
	s_or_b64 exec, exec, s[4:5]
.LBB7_6:
	s_or_b64 exec, exec, s[2:3]
	v_add_u32_e32 v10, v8, v10
	v_sub_u32_e32 v10, v10, v11
	v_lshl_add_u32 v12, v11, 1, v12
	v_lshl_add_u32 v13, v10, 1, v3
	ds_read_u16 v12, v12
	ds_read_u16 v13, v13
	v_add_u32_e32 v7, v11, v7
	v_cmp_le_i32_e64 s[2:3], v8, v7
	v_cmp_gt_i32_e64 s[0:1], v9, v10
	s_waitcnt lgkmcnt(0)
	v_cmp_lt_i16_e64 s[4:5], v13, v12
	s_or_b64 s[2:3], s[2:3], s[4:5]
	s_and_b64 s[0:1], s[0:1], s[2:3]
	v_cndmask_b32_e64 v7, v12, v13, s[0:1]
	; wave barrier
	ds_write_b16 v6, v7
	v_and_b32_e32 v7, 0x7c, v5
	v_and_b32_e32 v8, 3, v5
	v_min_i32_e32 v7, v4, v7
	v_min_i32_e32 v10, v4, v8
	v_add_u32_e32 v8, 2, v7
	v_min_i32_e32 v8, v4, v8
	v_add_u32_e32 v9, 2, v8
	v_min_i32_e32 v9, v4, v9
	v_sub_u32_e32 v11, v9, v8
	v_sub_u32_e32 v13, v8, v7
	;; [unrolled: 1-line block ×3, first 2 shown]
	v_cmp_ge_i32_e64 s[0:1], v10, v11
	v_cndmask_b32_e64 v11, 0, v14, s[0:1]
	v_min_i32_e32 v13, v10, v13
	v_lshl_add_u32 v12, v7, 1, v3
	v_cmp_lt_i32_e64 s[0:1], v11, v13
	; wave barrier
	s_and_saveexec_b64 s[2:3], s[0:1]
	s_cbranch_execz .LBB7_10
; %bb.7:
	v_lshlrev_b32_e32 v14, 1, v8
	v_lshlrev_b32_e32 v15, 1, v10
	v_add3_u32 v14, v3, v14, v15
	s_mov_b64 s[4:5], 0
.LBB7_8:                                ; =>This Inner Loop Header: Depth=1
	v_sub_u32_e32 v15, v13, v11
	v_lshrrev_b32_e32 v16, 31, v15
	v_add_u32_e32 v15, v15, v16
	v_ashrrev_i32_e32 v15, 1, v15
	v_add_u32_e32 v15, v15, v11
	v_not_b32_e32 v17, v15
	v_lshl_add_u32 v16, v15, 1, v12
	v_lshl_add_u32 v17, v17, 1, v14
	ds_read_u16 v16, v16
	ds_read_u16 v17, v17
	v_add_u32_e32 v18, 1, v15
	s_waitcnt lgkmcnt(0)
	v_cmp_lt_i16_e64 s[0:1], v17, v16
	v_cndmask_b32_e64 v13, v13, v15, s[0:1]
	v_cndmask_b32_e64 v11, v18, v11, s[0:1]
	v_cmp_ge_i32_e64 s[0:1], v11, v13
	s_or_b64 s[4:5], s[0:1], s[4:5]
	s_andn2_b64 exec, exec, s[4:5]
	s_cbranch_execnz .LBB7_8
; %bb.9:
	s_or_b64 exec, exec, s[4:5]
.LBB7_10:
	s_or_b64 exec, exec, s[2:3]
	v_add_u32_e32 v10, v8, v10
	v_sub_u32_e32 v10, v10, v11
	v_lshl_add_u32 v12, v11, 1, v12
	v_lshl_add_u32 v13, v10, 1, v3
	ds_read_u16 v12, v12
	ds_read_u16 v13, v13
	v_add_u32_e32 v7, v11, v7
	v_cmp_le_i32_e64 s[2:3], v8, v7
	v_cmp_gt_i32_e64 s[0:1], v9, v10
	s_waitcnt lgkmcnt(0)
	v_cmp_lt_i16_e64 s[4:5], v13, v12
	s_or_b64 s[2:3], s[2:3], s[4:5]
	s_and_b64 s[0:1], s[0:1], s[2:3]
	v_cndmask_b32_e64 v7, v12, v13, s[0:1]
	; wave barrier
	ds_write_b16 v6, v7
	v_and_b32_e32 v7, 0x78, v5
	v_and_b32_e32 v8, 7, v5
	v_min_i32_e32 v7, v4, v7
	v_min_i32_e32 v10, v4, v8
	v_add_u32_e32 v8, 4, v7
	v_min_i32_e32 v8, v4, v8
	v_add_u32_e32 v9, 4, v8
	v_min_i32_e32 v9, v4, v9
	v_sub_u32_e32 v11, v9, v8
	v_sub_u32_e32 v13, v8, v7
	v_sub_u32_e32 v14, v10, v11
	v_cmp_ge_i32_e64 s[0:1], v10, v11
	v_cndmask_b32_e64 v11, 0, v14, s[0:1]
	v_min_i32_e32 v13, v10, v13
	v_lshl_add_u32 v12, v7, 1, v3
	v_cmp_lt_i32_e64 s[0:1], v11, v13
	; wave barrier
	s_and_saveexec_b64 s[2:3], s[0:1]
	s_cbranch_execz .LBB7_14
; %bb.11:
	v_lshlrev_b32_e32 v14, 1, v8
	v_lshlrev_b32_e32 v15, 1, v10
	v_add3_u32 v14, v3, v14, v15
	s_mov_b64 s[4:5], 0
.LBB7_12:                               ; =>This Inner Loop Header: Depth=1
	v_sub_u32_e32 v15, v13, v11
	v_lshrrev_b32_e32 v16, 31, v15
	v_add_u32_e32 v15, v15, v16
	v_ashrrev_i32_e32 v15, 1, v15
	v_add_u32_e32 v15, v15, v11
	v_not_b32_e32 v17, v15
	v_lshl_add_u32 v16, v15, 1, v12
	v_lshl_add_u32 v17, v17, 1, v14
	ds_read_u16 v16, v16
	ds_read_u16 v17, v17
	v_add_u32_e32 v18, 1, v15
	s_waitcnt lgkmcnt(0)
	v_cmp_lt_i16_e64 s[0:1], v17, v16
	v_cndmask_b32_e64 v13, v13, v15, s[0:1]
	v_cndmask_b32_e64 v11, v18, v11, s[0:1]
	v_cmp_ge_i32_e64 s[0:1], v11, v13
	s_or_b64 s[4:5], s[0:1], s[4:5]
	s_andn2_b64 exec, exec, s[4:5]
	s_cbranch_execnz .LBB7_12
; %bb.13:
	s_or_b64 exec, exec, s[4:5]
.LBB7_14:
	s_or_b64 exec, exec, s[2:3]
	v_add_u32_e32 v10, v8, v10
	v_sub_u32_e32 v10, v10, v11
	v_lshl_add_u32 v12, v11, 1, v12
	v_lshl_add_u32 v13, v10, 1, v3
	ds_read_u16 v12, v12
	ds_read_u16 v13, v13
	v_add_u32_e32 v7, v11, v7
	v_cmp_le_i32_e64 s[2:3], v8, v7
	v_cmp_gt_i32_e64 s[0:1], v9, v10
	s_waitcnt lgkmcnt(0)
	v_cmp_lt_i16_e64 s[4:5], v13, v12
	s_or_b64 s[2:3], s[2:3], s[4:5]
	s_and_b64 s[0:1], s[0:1], s[2:3]
	v_cndmask_b32_e64 v7, v12, v13, s[0:1]
	; wave barrier
	ds_write_b16 v6, v7
	v_and_b32_e32 v7, 0x70, v5
	v_and_b32_e32 v8, 15, v5
	v_min_i32_e32 v7, v4, v7
	v_min_i32_e32 v10, v4, v8
	v_add_u32_e32 v8, 8, v7
	v_min_i32_e32 v8, v4, v8
	v_add_u32_e32 v9, 8, v8
	v_min_i32_e32 v9, v4, v9
	v_sub_u32_e32 v11, v9, v8
	v_sub_u32_e32 v13, v8, v7
	v_sub_u32_e32 v14, v10, v11
	v_cmp_ge_i32_e64 s[0:1], v10, v11
	v_cndmask_b32_e64 v11, 0, v14, s[0:1]
	v_min_i32_e32 v13, v10, v13
	v_lshl_add_u32 v12, v7, 1, v3
	v_cmp_lt_i32_e64 s[0:1], v11, v13
	; wave barrier
	s_and_saveexec_b64 s[2:3], s[0:1]
	s_cbranch_execz .LBB7_18
; %bb.15:
	v_lshlrev_b32_e32 v14, 1, v8
	v_lshlrev_b32_e32 v15, 1, v10
	v_add3_u32 v14, v3, v14, v15
	s_mov_b64 s[4:5], 0
.LBB7_16:                               ; =>This Inner Loop Header: Depth=1
	v_sub_u32_e32 v15, v13, v11
	v_lshrrev_b32_e32 v16, 31, v15
	v_add_u32_e32 v15, v15, v16
	v_ashrrev_i32_e32 v15, 1, v15
	v_add_u32_e32 v15, v15, v11
	v_not_b32_e32 v17, v15
	v_lshl_add_u32 v16, v15, 1, v12
	v_lshl_add_u32 v17, v17, 1, v14
	ds_read_u16 v16, v16
	ds_read_u16 v17, v17
	v_add_u32_e32 v18, 1, v15
	s_waitcnt lgkmcnt(0)
	v_cmp_lt_i16_e64 s[0:1], v17, v16
	v_cndmask_b32_e64 v13, v13, v15, s[0:1]
	v_cndmask_b32_e64 v11, v18, v11, s[0:1]
	v_cmp_ge_i32_e64 s[0:1], v11, v13
	s_or_b64 s[4:5], s[0:1], s[4:5]
	s_andn2_b64 exec, exec, s[4:5]
	s_cbranch_execnz .LBB7_16
; %bb.17:
	s_or_b64 exec, exec, s[4:5]
.LBB7_18:
	;; [unrolled: 64-line block ×3, first 2 shown]
	s_or_b64 exec, exec, s[2:3]
	v_add_u32_e32 v10, v8, v10
	v_sub_u32_e32 v10, v10, v11
	v_lshl_add_u32 v12, v11, 1, v12
	v_lshl_add_u32 v13, v10, 1, v3
	ds_read_u16 v12, v12
	ds_read_u16 v13, v13
	v_add_u32_e32 v7, v11, v7
	v_cmp_le_i32_e64 s[2:3], v8, v7
	v_cmp_gt_i32_e64 s[0:1], v9, v10
	s_waitcnt lgkmcnt(0)
	v_cmp_lt_i16_e64 s[4:5], v13, v12
	s_or_b64 s[2:3], s[2:3], s[4:5]
	s_and_b64 s[0:1], s[0:1], s[2:3]
	v_cndmask_b32_e64 v7, v12, v13, s[0:1]
	; wave barrier
	ds_write_b16 v6, v7
	v_and_b32_e32 v6, 64, v5
	v_and_b32_e32 v5, 63, v5
	v_min_i32_e32 v8, v4, v5
	v_min_i32_e32 v5, v4, v6
	v_add_u32_e32 v6, 32, v5
	v_min_i32_e32 v6, v4, v6
	v_add_u32_e32 v7, 32, v6
	v_min_i32_e32 v4, v4, v7
	v_sub_u32_e32 v7, v4, v6
	v_sub_u32_e32 v10, v6, v5
	;; [unrolled: 1-line block ×3, first 2 shown]
	v_cmp_ge_i32_e64 s[0:1], v8, v7
	v_cndmask_b32_e64 v7, 0, v11, s[0:1]
	v_min_i32_e32 v10, v8, v10
	v_lshl_add_u32 v9, v5, 1, v3
	v_cmp_lt_i32_e64 s[0:1], v7, v10
	; wave barrier
	s_and_saveexec_b64 s[2:3], s[0:1]
	s_cbranch_execnz .LBB7_25
; %bb.23:
	s_or_b64 exec, exec, s[2:3]
	s_and_saveexec_b64 s[0:1], vcc
	s_cbranch_execnz .LBB7_28
.LBB7_24:
	s_endpgm
.LBB7_25:
	v_lshlrev_b32_e32 v11, 1, v6
	v_lshlrev_b32_e32 v12, 1, v8
	v_add3_u32 v11, v3, v11, v12
	s_mov_b64 s[4:5], 0
.LBB7_26:                               ; =>This Inner Loop Header: Depth=1
	v_sub_u32_e32 v12, v10, v7
	v_lshrrev_b32_e32 v13, 31, v12
	v_add_u32_e32 v12, v12, v13
	v_ashrrev_i32_e32 v12, 1, v12
	v_add_u32_e32 v12, v12, v7
	v_not_b32_e32 v14, v12
	v_lshl_add_u32 v13, v12, 1, v9
	v_lshl_add_u32 v14, v14, 1, v11
	ds_read_u16 v13, v13
	ds_read_u16 v14, v14
	v_add_u32_e32 v15, 1, v12
	s_waitcnt lgkmcnt(0)
	v_cmp_lt_i16_e64 s[0:1], v14, v13
	v_cndmask_b32_e64 v10, v10, v12, s[0:1]
	v_cndmask_b32_e64 v7, v15, v7, s[0:1]
	v_cmp_ge_i32_e64 s[0:1], v7, v10
	s_or_b64 s[4:5], s[0:1], s[4:5]
	s_andn2_b64 exec, exec, s[4:5]
	s_cbranch_execnz .LBB7_26
; %bb.27:
	s_or_b64 exec, exec, s[4:5]
	s_or_b64 exec, exec, s[2:3]
	s_and_saveexec_b64 s[0:1], vcc
	s_cbranch_execz .LBB7_24
.LBB7_28:
	v_add_u32_e32 v8, v6, v8
	v_sub_u32_e32 v8, v8, v7
	v_lshl_add_u32 v3, v8, 1, v3
	v_lshl_add_u32 v9, v7, 1, v9
	ds_read_u16 v3, v3
	ds_read_u16 v9, v9
	v_add_co_u32_e32 v0, vcc, v0, v2
	v_add_u32_e32 v2, v7, v5
	v_addc_co_u32_e32 v1, vcc, 0, v1, vcc
	v_cmp_le_i32_e64 s[0:1], v6, v2
	s_waitcnt lgkmcnt(0)
	v_cmp_lt_i16_e64 s[2:3], v3, v9
	v_cmp_gt_i32_e32 vcc, v4, v8
	s_or_b64 s[0:1], s[0:1], s[2:3]
	s_and_b64 vcc, vcc, s[0:1]
	v_cndmask_b32_e32 v2, v9, v3, vcc
	global_store_short v[0:1], v2, off
	s_endpgm
	.section	.rodata,"a",@progbits
	.p2align	6, 0x0
	.amdhsa_kernel _Z19sort_keys_segmentedILj512ELj64ELj1ELb0EsN10test_utils4lessEEvPT3_PKjT4_
		.amdhsa_group_segment_fixed_size 1040
		.amdhsa_private_segment_fixed_size 0
		.amdhsa_kernarg_size 20
		.amdhsa_user_sgpr_count 6
		.amdhsa_user_sgpr_private_segment_buffer 1
		.amdhsa_user_sgpr_dispatch_ptr 0
		.amdhsa_user_sgpr_queue_ptr 0
		.amdhsa_user_sgpr_kernarg_segment_ptr 1
		.amdhsa_user_sgpr_dispatch_id 0
		.amdhsa_user_sgpr_flat_scratch_init 0
		.amdhsa_user_sgpr_kernarg_preload_length 0
		.amdhsa_user_sgpr_kernarg_preload_offset 0
		.amdhsa_user_sgpr_private_segment_size 0
		.amdhsa_uses_dynamic_stack 0
		.amdhsa_system_sgpr_private_segment_wavefront_offset 0
		.amdhsa_system_sgpr_workgroup_id_x 1
		.amdhsa_system_sgpr_workgroup_id_y 0
		.amdhsa_system_sgpr_workgroup_id_z 0
		.amdhsa_system_sgpr_workgroup_info 0
		.amdhsa_system_vgpr_workitem_id 0
		.amdhsa_next_free_vgpr 19
		.amdhsa_next_free_sgpr 7
		.amdhsa_accum_offset 20
		.amdhsa_reserve_vcc 1
		.amdhsa_reserve_flat_scratch 0
		.amdhsa_float_round_mode_32 0
		.amdhsa_float_round_mode_16_64 0
		.amdhsa_float_denorm_mode_32 3
		.amdhsa_float_denorm_mode_16_64 3
		.amdhsa_dx10_clamp 1
		.amdhsa_ieee_mode 1
		.amdhsa_fp16_overflow 0
		.amdhsa_tg_split 0
		.amdhsa_exception_fp_ieee_invalid_op 0
		.amdhsa_exception_fp_denorm_src 0
		.amdhsa_exception_fp_ieee_div_zero 0
		.amdhsa_exception_fp_ieee_overflow 0
		.amdhsa_exception_fp_ieee_underflow 0
		.amdhsa_exception_fp_ieee_inexact 0
		.amdhsa_exception_int_div_zero 0
	.end_amdhsa_kernel
	.section	.text._Z19sort_keys_segmentedILj512ELj64ELj1ELb0EsN10test_utils4lessEEvPT3_PKjT4_,"axG",@progbits,_Z19sort_keys_segmentedILj512ELj64ELj1ELb0EsN10test_utils4lessEEvPT3_PKjT4_,comdat
.Lfunc_end7:
	.size	_Z19sort_keys_segmentedILj512ELj64ELj1ELb0EsN10test_utils4lessEEvPT3_PKjT4_, .Lfunc_end7-_Z19sort_keys_segmentedILj512ELj64ELj1ELb0EsN10test_utils4lessEEvPT3_PKjT4_
                                        ; -- End function
	.section	.AMDGPU.csdata,"",@progbits
; Kernel info:
; codeLenInByte = 2148
; NumSgprs: 11
; NumVgprs: 19
; NumAgprs: 0
; TotalNumVgprs: 19
; ScratchSize: 0
; MemoryBound: 0
; FloatMode: 240
; IeeeMode: 1
; LDSByteSize: 1040 bytes/workgroup (compile time only)
; SGPRBlocks: 1
; VGPRBlocks: 2
; NumSGPRsForWavesPerEU: 11
; NumVGPRsForWavesPerEU: 19
; AccumOffset: 20
; Occupancy: 8
; WaveLimiterHint : 0
; COMPUTE_PGM_RSRC2:SCRATCH_EN: 0
; COMPUTE_PGM_RSRC2:USER_SGPR: 6
; COMPUTE_PGM_RSRC2:TRAP_HANDLER: 0
; COMPUTE_PGM_RSRC2:TGID_X_EN: 1
; COMPUTE_PGM_RSRC2:TGID_Y_EN: 0
; COMPUTE_PGM_RSRC2:TGID_Z_EN: 0
; COMPUTE_PGM_RSRC2:TIDIG_COMP_CNT: 0
; COMPUTE_PGM_RSRC3_GFX90A:ACCUM_OFFSET: 4
; COMPUTE_PGM_RSRC3_GFX90A:TG_SPLIT: 0
	.section	.text._Z19sort_keys_segmentedILj32ELj32ELj1ELb0EdN10test_utils4lessEEvPT3_PKjT4_,"axG",@progbits,_Z19sort_keys_segmentedILj32ELj32ELj1ELb0EdN10test_utils4lessEEvPT3_PKjT4_,comdat
	.protected	_Z19sort_keys_segmentedILj32ELj32ELj1ELb0EdN10test_utils4lessEEvPT3_PKjT4_ ; -- Begin function _Z19sort_keys_segmentedILj32ELj32ELj1ELb0EdN10test_utils4lessEEvPT3_PKjT4_
	.globl	_Z19sort_keys_segmentedILj32ELj32ELj1ELb0EdN10test_utils4lessEEvPT3_PKjT4_
	.p2align	8
	.type	_Z19sort_keys_segmentedILj32ELj32ELj1ELb0EdN10test_utils4lessEEvPT3_PKjT4_,@function
_Z19sort_keys_segmentedILj32ELj32ELj1ELb0EdN10test_utils4lessEEvPT3_PKjT4_: ; @_Z19sort_keys_segmentedILj32ELj32ELj1ELb0EdN10test_utils4lessEEvPT3_PKjT4_
; %bb.0:
	s_load_dwordx4 s[0:3], s[4:5], 0x0
	s_mov_b32 s7, 0
	s_lshl_b64 s[4:5], s[6:7], 2
	v_mbcnt_lo_u32_b32 v0, -1, 0
	v_mbcnt_hi_u32_b32 v6, -1, v0
	s_waitcnt lgkmcnt(0)
	s_add_u32 s2, s2, s4
	s_addc_u32 s3, s3, s5
	s_load_dword s8, s[2:3], 0x0
	s_lshl_b32 s6, s6, 5
	s_lshl_b64 s[2:3], s[6:7], 3
	s_add_u32 s0, s0, s2
	v_and_b32_e32 v5, 31, v6
	s_addc_u32 s1, s1, s3
	v_pk_mov_b32 v[0:1], s[0:1], s[0:1] op_sel:[0,1]
	s_waitcnt lgkmcnt(0)
	v_cmp_gt_u32_e32 vcc, s8, v5
	v_lshlrev_b32_e32 v4, 3, v5
                                        ; implicit-def: $vgpr2_vgpr3
	s_and_saveexec_b64 s[2:3], vcc
	s_cbranch_execz .LBB8_2
; %bb.1:
	v_add_co_u32_e64 v2, s[0:1], v0, v4
	v_addc_co_u32_e64 v3, s[0:1], 0, v1, s[0:1]
	global_load_dwordx2 v[2:3], v[2:3], off
.LBB8_2:
	s_or_b64 exec, exec, s[2:3]
	; wave barrier
	s_waitcnt vmcnt(0)
	ds_write_b64 v4, v[2:3]
	v_and_b32_e32 v2, 30, v6
	v_and_b32_e32 v3, 1, v6
	v_min_i32_e32 v2, s8, v2
	v_min_i32_e32 v8, s8, v3
	v_add_u32_e32 v3, 1, v2
	v_min_i32_e32 v3, s8, v3
	v_add_u32_e32 v7, 1, v3
	v_min_i32_e32 v7, s8, v7
	v_sub_u32_e32 v9, v7, v3
	v_sub_u32_e32 v11, v3, v2
	;; [unrolled: 1-line block ×3, first 2 shown]
	v_cmp_ge_i32_e64 s[0:1], v8, v9
	v_cndmask_b32_e64 v9, 0, v12, s[0:1]
	v_min_i32_e32 v11, v8, v11
	v_lshlrev_b32_e32 v10, 3, v2
	v_cmp_lt_i32_e64 s[0:1], v9, v11
	; wave barrier
	s_and_saveexec_b64 s[2:3], s[0:1]
	s_cbranch_execz .LBB8_6
; %bb.3:
	v_lshlrev_b32_e32 v12, 3, v8
	v_lshl_add_u32 v12, v3, 3, v12
	s_mov_b64 s[4:5], 0
.LBB8_4:                                ; =>This Inner Loop Header: Depth=1
	v_sub_u32_e32 v13, v11, v9
	v_lshrrev_b32_e32 v14, 31, v13
	v_add_u32_e32 v13, v13, v14
	v_ashrrev_i32_e32 v13, 1, v13
	v_add_u32_e32 v13, v13, v9
	v_not_b32_e32 v15, v13
	v_lshl_add_u32 v14, v13, 3, v10
	v_lshl_add_u32 v16, v15, 3, v12
	ds_read_b64 v[14:15], v14
	ds_read_b64 v[16:17], v16
	v_add_u32_e32 v18, 1, v13
	s_waitcnt lgkmcnt(0)
	v_cmp_lt_f64_e64 s[0:1], v[16:17], v[14:15]
	v_cndmask_b32_e64 v11, v11, v13, s[0:1]
	v_cndmask_b32_e64 v9, v18, v9, s[0:1]
	v_cmp_ge_i32_e64 s[0:1], v9, v11
	s_or_b64 s[4:5], s[0:1], s[4:5]
	s_andn2_b64 exec, exec, s[4:5]
	s_cbranch_execnz .LBB8_4
; %bb.5:
	s_or_b64 exec, exec, s[4:5]
.LBB8_6:
	s_or_b64 exec, exec, s[2:3]
	v_add_u32_e32 v8, v3, v8
	v_sub_u32_e32 v8, v8, v9
	v_lshl_add_u32 v10, v9, 3, v10
	v_lshlrev_b32_e32 v12, 3, v8
	ds_read_b64 v[10:11], v10
	ds_read_b64 v[12:13], v12
	v_add_u32_e32 v2, v9, v2
	v_cmp_le_i32_e64 s[2:3], v3, v2
	v_cmp_gt_i32_e64 s[0:1], v7, v8
	s_waitcnt lgkmcnt(0)
	v_cmp_lt_f64_e64 s[4:5], v[12:13], v[10:11]
	s_or_b64 s[2:3], s[2:3], s[4:5]
	s_and_b64 s[0:1], s[0:1], s[2:3]
	v_cndmask_b32_e64 v3, v11, v13, s[0:1]
	v_cndmask_b32_e64 v2, v10, v12, s[0:1]
	; wave barrier
	ds_write_b64 v4, v[2:3]
	v_and_b32_e32 v2, 28, v6
	v_and_b32_e32 v3, 3, v6
	v_min_i32_e32 v2, s8, v2
	v_min_i32_e32 v8, s8, v3
	v_add_u32_e32 v3, 2, v2
	v_min_i32_e32 v3, s8, v3
	v_add_u32_e32 v7, 2, v3
	v_min_i32_e32 v7, s8, v7
	v_sub_u32_e32 v9, v7, v3
	v_sub_u32_e32 v11, v3, v2
	;; [unrolled: 1-line block ×3, first 2 shown]
	v_cmp_ge_i32_e64 s[0:1], v8, v9
	v_cndmask_b32_e64 v9, 0, v12, s[0:1]
	v_min_i32_e32 v11, v8, v11
	v_lshlrev_b32_e32 v10, 3, v2
	v_cmp_lt_i32_e64 s[0:1], v9, v11
	; wave barrier
	s_and_saveexec_b64 s[2:3], s[0:1]
	s_cbranch_execz .LBB8_10
; %bb.7:
	v_lshlrev_b32_e32 v12, 3, v8
	v_lshl_add_u32 v12, v3, 3, v12
	s_mov_b64 s[4:5], 0
.LBB8_8:                                ; =>This Inner Loop Header: Depth=1
	v_sub_u32_e32 v13, v11, v9
	v_lshrrev_b32_e32 v14, 31, v13
	v_add_u32_e32 v13, v13, v14
	v_ashrrev_i32_e32 v13, 1, v13
	v_add_u32_e32 v13, v13, v9
	v_not_b32_e32 v15, v13
	v_lshl_add_u32 v14, v13, 3, v10
	v_lshl_add_u32 v16, v15, 3, v12
	ds_read_b64 v[14:15], v14
	ds_read_b64 v[16:17], v16
	v_add_u32_e32 v18, 1, v13
	s_waitcnt lgkmcnt(0)
	v_cmp_lt_f64_e64 s[0:1], v[16:17], v[14:15]
	v_cndmask_b32_e64 v11, v11, v13, s[0:1]
	v_cndmask_b32_e64 v9, v18, v9, s[0:1]
	v_cmp_ge_i32_e64 s[0:1], v9, v11
	s_or_b64 s[4:5], s[0:1], s[4:5]
	s_andn2_b64 exec, exec, s[4:5]
	s_cbranch_execnz .LBB8_8
; %bb.9:
	s_or_b64 exec, exec, s[4:5]
.LBB8_10:
	s_or_b64 exec, exec, s[2:3]
	v_add_u32_e32 v8, v3, v8
	v_sub_u32_e32 v8, v8, v9
	v_lshl_add_u32 v10, v9, 3, v10
	v_lshlrev_b32_e32 v12, 3, v8
	ds_read_b64 v[10:11], v10
	ds_read_b64 v[12:13], v12
	v_add_u32_e32 v2, v9, v2
	v_cmp_le_i32_e64 s[2:3], v3, v2
	v_cmp_gt_i32_e64 s[0:1], v7, v8
	s_waitcnt lgkmcnt(0)
	v_cmp_lt_f64_e64 s[4:5], v[12:13], v[10:11]
	s_or_b64 s[2:3], s[2:3], s[4:5]
	s_and_b64 s[0:1], s[0:1], s[2:3]
	v_cndmask_b32_e64 v3, v11, v13, s[0:1]
	v_cndmask_b32_e64 v2, v10, v12, s[0:1]
	; wave barrier
	ds_write_b64 v4, v[2:3]
	v_and_b32_e32 v2, 24, v6
	v_and_b32_e32 v3, 7, v6
	v_min_i32_e32 v2, s8, v2
	v_min_i32_e32 v8, s8, v3
	v_add_u32_e32 v3, 4, v2
	v_min_i32_e32 v3, s8, v3
	v_add_u32_e32 v7, 4, v3
	v_min_i32_e32 v7, s8, v7
	v_sub_u32_e32 v9, v7, v3
	v_sub_u32_e32 v11, v3, v2
	;; [unrolled: 1-line block ×3, first 2 shown]
	v_cmp_ge_i32_e64 s[0:1], v8, v9
	v_cndmask_b32_e64 v9, 0, v12, s[0:1]
	v_min_i32_e32 v11, v8, v11
	v_lshlrev_b32_e32 v10, 3, v2
	v_cmp_lt_i32_e64 s[0:1], v9, v11
	; wave barrier
	s_and_saveexec_b64 s[2:3], s[0:1]
	s_cbranch_execz .LBB8_14
; %bb.11:
	v_lshlrev_b32_e32 v12, 3, v8
	v_lshl_add_u32 v12, v3, 3, v12
	s_mov_b64 s[4:5], 0
.LBB8_12:                               ; =>This Inner Loop Header: Depth=1
	v_sub_u32_e32 v13, v11, v9
	v_lshrrev_b32_e32 v14, 31, v13
	v_add_u32_e32 v13, v13, v14
	v_ashrrev_i32_e32 v13, 1, v13
	v_add_u32_e32 v13, v13, v9
	v_not_b32_e32 v15, v13
	v_lshl_add_u32 v14, v13, 3, v10
	v_lshl_add_u32 v16, v15, 3, v12
	ds_read_b64 v[14:15], v14
	ds_read_b64 v[16:17], v16
	v_add_u32_e32 v18, 1, v13
	s_waitcnt lgkmcnt(0)
	v_cmp_lt_f64_e64 s[0:1], v[16:17], v[14:15]
	v_cndmask_b32_e64 v11, v11, v13, s[0:1]
	v_cndmask_b32_e64 v9, v18, v9, s[0:1]
	v_cmp_ge_i32_e64 s[0:1], v9, v11
	s_or_b64 s[4:5], s[0:1], s[4:5]
	s_andn2_b64 exec, exec, s[4:5]
	s_cbranch_execnz .LBB8_12
; %bb.13:
	s_or_b64 exec, exec, s[4:5]
.LBB8_14:
	s_or_b64 exec, exec, s[2:3]
	v_add_u32_e32 v8, v3, v8
	v_sub_u32_e32 v8, v8, v9
	v_lshl_add_u32 v10, v9, 3, v10
	v_lshlrev_b32_e32 v12, 3, v8
	ds_read_b64 v[10:11], v10
	ds_read_b64 v[12:13], v12
	v_add_u32_e32 v2, v9, v2
	v_cmp_le_i32_e64 s[2:3], v3, v2
	v_cmp_gt_i32_e64 s[0:1], v7, v8
	s_waitcnt lgkmcnt(0)
	v_cmp_lt_f64_e64 s[4:5], v[12:13], v[10:11]
	s_or_b64 s[2:3], s[2:3], s[4:5]
	s_and_b64 s[0:1], s[0:1], s[2:3]
	v_cndmask_b32_e64 v3, v11, v13, s[0:1]
	v_cndmask_b32_e64 v2, v10, v12, s[0:1]
	; wave barrier
	ds_write_b64 v4, v[2:3]
	v_and_b32_e32 v2, 16, v6
	v_and_b32_e32 v3, 15, v6
	v_min_i32_e32 v2, s8, v2
	v_min_i32_e32 v7, s8, v3
	v_add_u32_e32 v3, 8, v2
	v_min_i32_e32 v3, s8, v3
	v_add_u32_e32 v6, 8, v3
	v_min_i32_e32 v6, s8, v6
	v_sub_u32_e32 v8, v6, v3
	v_sub_u32_e32 v10, v3, v2
	;; [unrolled: 1-line block ×3, first 2 shown]
	v_cmp_ge_i32_e64 s[0:1], v7, v8
	v_cndmask_b32_e64 v8, 0, v11, s[0:1]
	v_min_i32_e32 v10, v7, v10
	v_lshlrev_b32_e32 v9, 3, v2
	v_cmp_lt_i32_e64 s[0:1], v8, v10
	; wave barrier
	s_and_saveexec_b64 s[2:3], s[0:1]
	s_cbranch_execz .LBB8_18
; %bb.15:
	v_lshlrev_b32_e32 v11, 3, v7
	v_lshl_add_u32 v11, v3, 3, v11
	s_mov_b64 s[4:5], 0
.LBB8_16:                               ; =>This Inner Loop Header: Depth=1
	v_sub_u32_e32 v12, v10, v8
	v_lshrrev_b32_e32 v13, 31, v12
	v_add_u32_e32 v12, v12, v13
	v_ashrrev_i32_e32 v12, 1, v12
	v_add_u32_e32 v16, v12, v8
	v_not_b32_e32 v13, v16
	v_lshl_add_u32 v12, v16, 3, v9
	v_lshl_add_u32 v14, v13, 3, v11
	ds_read_b64 v[12:13], v12
	ds_read_b64 v[14:15], v14
	v_add_u32_e32 v17, 1, v16
	s_waitcnt lgkmcnt(0)
	v_cmp_lt_f64_e64 s[0:1], v[14:15], v[12:13]
	v_cndmask_b32_e64 v10, v10, v16, s[0:1]
	v_cndmask_b32_e64 v8, v17, v8, s[0:1]
	v_cmp_ge_i32_e64 s[0:1], v8, v10
	s_or_b64 s[4:5], s[0:1], s[4:5]
	s_andn2_b64 exec, exec, s[4:5]
	s_cbranch_execnz .LBB8_16
; %bb.17:
	s_or_b64 exec, exec, s[4:5]
.LBB8_18:
	s_or_b64 exec, exec, s[2:3]
	v_add_u32_e32 v7, v3, v7
	v_sub_u32_e32 v7, v7, v8
	v_lshl_add_u32 v9, v8, 3, v9
	v_lshlrev_b32_e32 v12, 3, v7
	ds_read_b64 v[10:11], v9
	ds_read_b64 v[12:13], v12
	v_add_u32_e32 v2, v8, v2
	v_cmp_le_i32_e64 s[2:3], v3, v2
	v_cmp_gt_i32_e64 s[0:1], v6, v7
	s_waitcnt lgkmcnt(0)
	v_cmp_lt_f64_e64 s[4:5], v[12:13], v[10:11]
	s_or_b64 s[2:3], s[2:3], s[4:5]
	s_and_b64 s[0:1], s[0:1], s[2:3]
	v_cndmask_b32_e64 v3, v11, v13, s[0:1]
	v_cndmask_b32_e64 v2, v10, v12, s[0:1]
	; wave barrier
	ds_write_b64 v4, v[2:3]
	v_min_i32_e64 v2, s8, 0
	v_add_u32_e32 v3, 16, v2
	v_min_i32_e32 v3, s8, v3
	v_min_i32_e32 v7, s8, v5
	v_add_u32_e32 v5, 16, v3
	v_min_i32_e32 v5, s8, v5
	v_sub_u32_e32 v6, v5, v3
	v_sub_u32_e32 v9, v3, v2
	;; [unrolled: 1-line block ×3, first 2 shown]
	v_cmp_ge_i32_e64 s[0:1], v7, v6
	v_cndmask_b32_e64 v6, 0, v10, s[0:1]
	v_min_i32_e32 v9, v7, v9
	v_lshlrev_b32_e32 v8, 3, v2
	v_cmp_lt_i32_e64 s[0:1], v6, v9
	; wave barrier
	s_and_saveexec_b64 s[2:3], s[0:1]
	s_cbranch_execnz .LBB8_21
; %bb.19:
	s_or_b64 exec, exec, s[2:3]
	s_and_saveexec_b64 s[0:1], vcc
	s_cbranch_execnz .LBB8_24
.LBB8_20:
	s_endpgm
.LBB8_21:
	v_lshlrev_b32_e32 v10, 3, v7
	v_lshl_add_u32 v10, v3, 3, v10
	s_mov_b64 s[4:5], 0
.LBB8_22:                               ; =>This Inner Loop Header: Depth=1
	v_sub_u32_e32 v11, v9, v6
	v_lshrrev_b32_e32 v12, 31, v11
	v_add_u32_e32 v11, v11, v12
	v_ashrrev_i32_e32 v11, 1, v11
	v_add_u32_e32 v11, v11, v6
	v_not_b32_e32 v13, v11
	v_lshl_add_u32 v12, v11, 3, v8
	v_lshl_add_u32 v14, v13, 3, v10
	ds_read_b64 v[12:13], v12
	ds_read_b64 v[14:15], v14
	v_add_u32_e32 v16, 1, v11
	s_waitcnt lgkmcnt(0)
	v_cmp_lt_f64_e64 s[0:1], v[14:15], v[12:13]
	v_cndmask_b32_e64 v9, v9, v11, s[0:1]
	v_cndmask_b32_e64 v6, v16, v6, s[0:1]
	v_cmp_ge_i32_e64 s[0:1], v6, v9
	s_or_b64 s[4:5], s[0:1], s[4:5]
	s_andn2_b64 exec, exec, s[4:5]
	s_cbranch_execnz .LBB8_22
; %bb.23:
	s_or_b64 exec, exec, s[4:5]
	s_or_b64 exec, exec, s[2:3]
	s_and_saveexec_b64 s[0:1], vcc
	s_cbranch_execz .LBB8_20
.LBB8_24:
	v_add_u32_e32 v7, v3, v7
	v_sub_u32_e32 v7, v7, v6
	v_lshlrev_b32_e32 v9, 3, v7
	v_lshl_add_u32 v10, v6, 3, v8
	ds_read_b64 v[8:9], v9
	ds_read_b64 v[10:11], v10
	v_add_co_u32_e32 v0, vcc, v0, v4
	v_add_u32_e32 v2, v6, v2
	v_addc_co_u32_e32 v1, vcc, 0, v1, vcc
	v_cmp_le_i32_e64 s[0:1], v3, v2
	s_waitcnt lgkmcnt(0)
	v_cmp_lt_f64_e64 s[2:3], v[8:9], v[10:11]
	v_cmp_gt_i32_e32 vcc, v5, v7
	s_or_b64 s[0:1], s[0:1], s[2:3]
	s_and_b64 vcc, vcc, s[0:1]
	v_cndmask_b32_e32 v3, v11, v9, vcc
	v_cndmask_b32_e32 v2, v10, v8, vcc
	global_store_dwordx2 v[0:1], v[2:3], off
	s_endpgm
	.section	.rodata,"a",@progbits
	.p2align	6, 0x0
	.amdhsa_kernel _Z19sort_keys_segmentedILj32ELj32ELj1ELb0EdN10test_utils4lessEEvPT3_PKjT4_
		.amdhsa_group_segment_fixed_size 264
		.amdhsa_private_segment_fixed_size 0
		.amdhsa_kernarg_size 20
		.amdhsa_user_sgpr_count 6
		.amdhsa_user_sgpr_private_segment_buffer 1
		.amdhsa_user_sgpr_dispatch_ptr 0
		.amdhsa_user_sgpr_queue_ptr 0
		.amdhsa_user_sgpr_kernarg_segment_ptr 1
		.amdhsa_user_sgpr_dispatch_id 0
		.amdhsa_user_sgpr_flat_scratch_init 0
		.amdhsa_user_sgpr_kernarg_preload_length 0
		.amdhsa_user_sgpr_kernarg_preload_offset 0
		.amdhsa_user_sgpr_private_segment_size 0
		.amdhsa_uses_dynamic_stack 0
		.amdhsa_system_sgpr_private_segment_wavefront_offset 0
		.amdhsa_system_sgpr_workgroup_id_x 1
		.amdhsa_system_sgpr_workgroup_id_y 0
		.amdhsa_system_sgpr_workgroup_id_z 0
		.amdhsa_system_sgpr_workgroup_info 0
		.amdhsa_system_vgpr_workitem_id 0
		.amdhsa_next_free_vgpr 19
		.amdhsa_next_free_sgpr 9
		.amdhsa_accum_offset 20
		.amdhsa_reserve_vcc 1
		.amdhsa_reserve_flat_scratch 0
		.amdhsa_float_round_mode_32 0
		.amdhsa_float_round_mode_16_64 0
		.amdhsa_float_denorm_mode_32 3
		.amdhsa_float_denorm_mode_16_64 3
		.amdhsa_dx10_clamp 1
		.amdhsa_ieee_mode 1
		.amdhsa_fp16_overflow 0
		.amdhsa_tg_split 0
		.amdhsa_exception_fp_ieee_invalid_op 0
		.amdhsa_exception_fp_denorm_src 0
		.amdhsa_exception_fp_ieee_div_zero 0
		.amdhsa_exception_fp_ieee_overflow 0
		.amdhsa_exception_fp_ieee_underflow 0
		.amdhsa_exception_fp_ieee_inexact 0
		.amdhsa_exception_int_div_zero 0
	.end_amdhsa_kernel
	.section	.text._Z19sort_keys_segmentedILj32ELj32ELj1ELb0EdN10test_utils4lessEEvPT3_PKjT4_,"axG",@progbits,_Z19sort_keys_segmentedILj32ELj32ELj1ELb0EdN10test_utils4lessEEvPT3_PKjT4_,comdat
.Lfunc_end8:
	.size	_Z19sort_keys_segmentedILj32ELj32ELj1ELb0EdN10test_utils4lessEEvPT3_PKjT4_, .Lfunc_end8-_Z19sort_keys_segmentedILj32ELj32ELj1ELb0EdN10test_utils4lessEEvPT3_PKjT4_
                                        ; -- End function
	.section	.AMDGPU.csdata,"",@progbits
; Kernel info:
; codeLenInByte = 1740
; NumSgprs: 13
; NumVgprs: 19
; NumAgprs: 0
; TotalNumVgprs: 19
; ScratchSize: 0
; MemoryBound: 0
; FloatMode: 240
; IeeeMode: 1
; LDSByteSize: 264 bytes/workgroup (compile time only)
; SGPRBlocks: 1
; VGPRBlocks: 2
; NumSGPRsForWavesPerEU: 13
; NumVGPRsForWavesPerEU: 19
; AccumOffset: 20
; Occupancy: 8
; WaveLimiterHint : 0
; COMPUTE_PGM_RSRC2:SCRATCH_EN: 0
; COMPUTE_PGM_RSRC2:USER_SGPR: 6
; COMPUTE_PGM_RSRC2:TRAP_HANDLER: 0
; COMPUTE_PGM_RSRC2:TGID_X_EN: 1
; COMPUTE_PGM_RSRC2:TGID_Y_EN: 0
; COMPUTE_PGM_RSRC2:TGID_Z_EN: 0
; COMPUTE_PGM_RSRC2:TIDIG_COMP_CNT: 0
; COMPUTE_PGM_RSRC3_GFX90A:ACCUM_OFFSET: 4
; COMPUTE_PGM_RSRC3_GFX90A:TG_SPLIT: 0
	.section	.text._Z19sort_keys_segmentedILj64ELj16ELj1ELb0EfN10test_utils4lessEEvPT3_PKjT4_,"axG",@progbits,_Z19sort_keys_segmentedILj64ELj16ELj1ELb0EfN10test_utils4lessEEvPT3_PKjT4_,comdat
	.protected	_Z19sort_keys_segmentedILj64ELj16ELj1ELb0EfN10test_utils4lessEEvPT3_PKjT4_ ; -- Begin function _Z19sort_keys_segmentedILj64ELj16ELj1ELb0EfN10test_utils4lessEEvPT3_PKjT4_
	.globl	_Z19sort_keys_segmentedILj64ELj16ELj1ELb0EfN10test_utils4lessEEvPT3_PKjT4_
	.p2align	8
	.type	_Z19sort_keys_segmentedILj64ELj16ELj1ELb0EfN10test_utils4lessEEvPT3_PKjT4_,@function
_Z19sort_keys_segmentedILj64ELj16ELj1ELb0EfN10test_utils4lessEEvPT3_PKjT4_: ; @_Z19sort_keys_segmentedILj64ELj16ELj1ELb0EfN10test_utils4lessEEvPT3_PKjT4_
; %bb.0:
	s_load_dwordx4 s[0:3], s[4:5], 0x0
	v_lshrrev_b32_e32 v12, 4, v0
	v_lshl_or_b32 v0, s6, 2, v12
	v_mov_b32_e32 v1, 0
	v_lshlrev_b64 v[2:3], 2, v[0:1]
	s_waitcnt lgkmcnt(0)
	v_mov_b32_e32 v4, s3
	v_add_co_u32_e32 v2, vcc, s2, v2
	v_addc_co_u32_e32 v3, vcc, v4, v3, vcc
	global_load_dword v4, v[2:3], off
	v_lshlrev_b32_e32 v0, 4, v0
	v_mbcnt_lo_u32_b32 v2, -1, 0
	v_lshlrev_b64 v[0:1], 2, v[0:1]
	v_mbcnt_hi_u32_b32 v7, -1, v2
	v_mov_b32_e32 v2, s1
	v_add_co_u32_e32 v0, vcc, s0, v0
	v_and_b32_e32 v5, 15, v7
	v_addc_co_u32_e32 v1, vcc, v2, v1, vcc
	v_lshlrev_b32_e32 v2, 2, v5
                                        ; implicit-def: $vgpr8
	s_waitcnt vmcnt(0)
	v_cmp_lt_u32_e32 vcc, v5, v4
	s_and_saveexec_b64 s[2:3], vcc
	s_cbranch_execz .LBB9_2
; %bb.1:
	v_add_co_u32_e64 v8, s[0:1], v0, v2
	v_addc_co_u32_e64 v9, s[0:1], 0, v1, s[0:1]
	global_load_dword v8, v[8:9], off
.LBB9_2:
	s_or_b64 exec, exec, s[2:3]
	s_movk_i32 s0, 0x44
	v_mad_u32_u24 v6, v12, s0, v2
	; wave barrier
	s_waitcnt vmcnt(0)
	ds_write_b32 v6, v8
	v_and_b32_e32 v8, 14, v7
	v_and_b32_e32 v9, 1, v7
	v_min_i32_e32 v8, v4, v8
	v_min_i32_e32 v11, v4, v9
	v_add_u32_e32 v9, 1, v8
	v_min_i32_e32 v9, v4, v9
	v_add_u32_e32 v10, 1, v9
	v_min_i32_e32 v10, v4, v10
	v_sub_u32_e32 v15, v10, v9
	v_lshlrev_b32_e32 v13, 2, v8
	v_mul_u32_u24_e32 v3, 0x44, v12
	v_sub_u32_e32 v14, v9, v8
	v_mad_u32_u24 v13, v12, s0, v13
	v_sub_u32_e32 v12, v11, v15
	v_cmp_ge_i32_e64 s[0:1], v11, v15
	v_cndmask_b32_e64 v12, 0, v12, s[0:1]
	v_min_i32_e32 v14, v11, v14
	v_cmp_lt_i32_e64 s[0:1], v12, v14
	; wave barrier
	s_and_saveexec_b64 s[2:3], s[0:1]
	s_cbranch_execz .LBB9_6
; %bb.3:
	v_lshlrev_b32_e32 v15, 2, v9
	v_lshlrev_b32_e32 v16, 2, v11
	v_add3_u32 v15, v3, v15, v16
	s_mov_b64 s[4:5], 0
.LBB9_4:                                ; =>This Inner Loop Header: Depth=1
	v_sub_u32_e32 v16, v14, v12
	v_lshrrev_b32_e32 v17, 31, v16
	v_add_u32_e32 v16, v16, v17
	v_ashrrev_i32_e32 v16, 1, v16
	v_add_u32_e32 v16, v16, v12
	v_not_b32_e32 v18, v16
	v_lshl_add_u32 v17, v16, 2, v13
	v_lshl_add_u32 v18, v18, 2, v15
	ds_read_b32 v17, v17
	ds_read_b32 v18, v18
	v_add_u32_e32 v19, 1, v16
	s_waitcnt lgkmcnt(0)
	v_cmp_lt_f32_e64 s[0:1], v18, v17
	v_cndmask_b32_e64 v14, v14, v16, s[0:1]
	v_cndmask_b32_e64 v12, v19, v12, s[0:1]
	v_cmp_ge_i32_e64 s[0:1], v12, v14
	s_or_b64 s[4:5], s[0:1], s[4:5]
	s_andn2_b64 exec, exec, s[4:5]
	s_cbranch_execnz .LBB9_4
; %bb.5:
	s_or_b64 exec, exec, s[4:5]
.LBB9_6:
	s_or_b64 exec, exec, s[2:3]
	v_add_u32_e32 v11, v9, v11
	v_sub_u32_e32 v11, v11, v12
	v_lshl_add_u32 v13, v12, 2, v13
	v_lshl_add_u32 v14, v11, 2, v3
	ds_read_b32 v13, v13
	ds_read_b32 v14, v14
	v_add_u32_e32 v8, v12, v8
	v_cmp_le_i32_e64 s[2:3], v9, v8
	v_cmp_gt_i32_e64 s[0:1], v10, v11
	s_waitcnt lgkmcnt(0)
	v_cmp_lt_f32_e64 s[4:5], v14, v13
	s_or_b64 s[2:3], s[2:3], s[4:5]
	s_and_b64 s[0:1], s[0:1], s[2:3]
	v_cndmask_b32_e64 v8, v13, v14, s[0:1]
	; wave barrier
	ds_write_b32 v6, v8
	v_and_b32_e32 v8, 12, v7
	v_and_b32_e32 v9, 3, v7
	v_min_i32_e32 v8, v4, v8
	v_min_i32_e32 v11, v4, v9
	v_add_u32_e32 v9, 2, v8
	v_min_i32_e32 v9, v4, v9
	v_add_u32_e32 v10, 2, v9
	v_min_i32_e32 v10, v4, v10
	v_sub_u32_e32 v12, v10, v9
	v_sub_u32_e32 v14, v9, v8
	;; [unrolled: 1-line block ×3, first 2 shown]
	v_cmp_ge_i32_e64 s[0:1], v11, v12
	v_cndmask_b32_e64 v12, 0, v15, s[0:1]
	v_min_i32_e32 v14, v11, v14
	v_lshl_add_u32 v13, v8, 2, v3
	v_cmp_lt_i32_e64 s[0:1], v12, v14
	; wave barrier
	s_and_saveexec_b64 s[2:3], s[0:1]
	s_cbranch_execz .LBB9_10
; %bb.7:
	v_lshlrev_b32_e32 v15, 2, v9
	v_lshlrev_b32_e32 v16, 2, v11
	v_add3_u32 v15, v3, v15, v16
	s_mov_b64 s[4:5], 0
.LBB9_8:                                ; =>This Inner Loop Header: Depth=1
	v_sub_u32_e32 v16, v14, v12
	v_lshrrev_b32_e32 v17, 31, v16
	v_add_u32_e32 v16, v16, v17
	v_ashrrev_i32_e32 v16, 1, v16
	v_add_u32_e32 v16, v16, v12
	v_not_b32_e32 v18, v16
	v_lshl_add_u32 v17, v16, 2, v13
	v_lshl_add_u32 v18, v18, 2, v15
	ds_read_b32 v17, v17
	ds_read_b32 v18, v18
	v_add_u32_e32 v19, 1, v16
	s_waitcnt lgkmcnt(0)
	v_cmp_lt_f32_e64 s[0:1], v18, v17
	v_cndmask_b32_e64 v14, v14, v16, s[0:1]
	v_cndmask_b32_e64 v12, v19, v12, s[0:1]
	v_cmp_ge_i32_e64 s[0:1], v12, v14
	s_or_b64 s[4:5], s[0:1], s[4:5]
	s_andn2_b64 exec, exec, s[4:5]
	s_cbranch_execnz .LBB9_8
; %bb.9:
	s_or_b64 exec, exec, s[4:5]
.LBB9_10:
	s_or_b64 exec, exec, s[2:3]
	v_add_u32_e32 v11, v9, v11
	v_sub_u32_e32 v11, v11, v12
	v_lshl_add_u32 v13, v12, 2, v13
	v_lshl_add_u32 v14, v11, 2, v3
	ds_read_b32 v13, v13
	ds_read_b32 v14, v14
	v_add_u32_e32 v8, v12, v8
	v_cmp_le_i32_e64 s[2:3], v9, v8
	v_cmp_gt_i32_e64 s[0:1], v10, v11
	s_waitcnt lgkmcnt(0)
	v_cmp_lt_f32_e64 s[4:5], v14, v13
	s_or_b64 s[2:3], s[2:3], s[4:5]
	s_and_b64 s[0:1], s[0:1], s[2:3]
	v_cndmask_b32_e64 v8, v13, v14, s[0:1]
	; wave barrier
	ds_write_b32 v6, v8
	v_and_b32_e32 v8, 8, v7
	v_and_b32_e32 v7, 7, v7
	v_min_i32_e32 v10, v4, v7
	v_min_i32_e32 v7, v4, v8
	v_add_u32_e32 v8, 4, v7
	v_min_i32_e32 v8, v4, v8
	v_add_u32_e32 v9, 4, v8
	v_min_i32_e32 v9, v4, v9
	v_sub_u32_e32 v11, v9, v8
	v_sub_u32_e32 v13, v8, v7
	;; [unrolled: 1-line block ×3, first 2 shown]
	v_cmp_ge_i32_e64 s[0:1], v10, v11
	v_cndmask_b32_e64 v11, 0, v14, s[0:1]
	v_min_i32_e32 v13, v10, v13
	v_lshl_add_u32 v12, v7, 2, v3
	v_cmp_lt_i32_e64 s[0:1], v11, v13
	; wave barrier
	s_and_saveexec_b64 s[2:3], s[0:1]
	s_cbranch_execz .LBB9_14
; %bb.11:
	v_lshlrev_b32_e32 v14, 2, v8
	v_lshlrev_b32_e32 v15, 2, v10
	v_add3_u32 v14, v3, v14, v15
	s_mov_b64 s[4:5], 0
.LBB9_12:                               ; =>This Inner Loop Header: Depth=1
	v_sub_u32_e32 v15, v13, v11
	v_lshrrev_b32_e32 v16, 31, v15
	v_add_u32_e32 v15, v15, v16
	v_ashrrev_i32_e32 v15, 1, v15
	v_add_u32_e32 v15, v15, v11
	v_not_b32_e32 v17, v15
	v_lshl_add_u32 v16, v15, 2, v12
	v_lshl_add_u32 v17, v17, 2, v14
	ds_read_b32 v16, v16
	ds_read_b32 v17, v17
	v_add_u32_e32 v18, 1, v15
	s_waitcnt lgkmcnt(0)
	v_cmp_lt_f32_e64 s[0:1], v17, v16
	v_cndmask_b32_e64 v13, v13, v15, s[0:1]
	v_cndmask_b32_e64 v11, v18, v11, s[0:1]
	v_cmp_ge_i32_e64 s[0:1], v11, v13
	s_or_b64 s[4:5], s[0:1], s[4:5]
	s_andn2_b64 exec, exec, s[4:5]
	s_cbranch_execnz .LBB9_12
; %bb.13:
	s_or_b64 exec, exec, s[4:5]
.LBB9_14:
	s_or_b64 exec, exec, s[2:3]
	v_add_u32_e32 v10, v8, v10
	v_sub_u32_e32 v10, v10, v11
	v_lshl_add_u32 v12, v11, 2, v12
	v_lshl_add_u32 v13, v10, 2, v3
	ds_read_b32 v12, v12
	ds_read_b32 v13, v13
	v_add_u32_e32 v7, v11, v7
	v_cmp_le_i32_e64 s[2:3], v8, v7
	v_cmp_gt_i32_e64 s[0:1], v9, v10
	v_min_i32_e32 v8, v4, v5
	s_waitcnt lgkmcnt(0)
	v_cmp_lt_f32_e64 s[4:5], v13, v12
	s_or_b64 s[2:3], s[2:3], s[4:5]
	s_and_b64 s[0:1], s[0:1], s[2:3]
	v_cndmask_b32_e64 v7, v12, v13, s[0:1]
	v_min_i32_e32 v5, 0, v4
	; wave barrier
	ds_write_b32 v6, v7
	v_add_u32_e32 v6, 8, v5
	v_min_i32_e32 v6, v4, v6
	v_add_u32_e32 v7, 8, v6
	v_min_i32_e32 v4, v4, v7
	v_sub_u32_e32 v7, v4, v6
	v_sub_u32_e32 v10, v6, v5
	;; [unrolled: 1-line block ×3, first 2 shown]
	v_cmp_ge_i32_e64 s[0:1], v8, v7
	v_cndmask_b32_e64 v7, 0, v11, s[0:1]
	v_min_i32_e32 v10, v8, v10
	v_lshl_add_u32 v9, v5, 2, v3
	v_cmp_lt_i32_e64 s[0:1], v7, v10
	; wave barrier
	s_and_saveexec_b64 s[2:3], s[0:1]
	s_cbranch_execnz .LBB9_17
; %bb.15:
	s_or_b64 exec, exec, s[2:3]
	s_and_saveexec_b64 s[0:1], vcc
	s_cbranch_execnz .LBB9_20
.LBB9_16:
	s_endpgm
.LBB9_17:
	v_lshlrev_b32_e32 v11, 2, v6
	v_lshlrev_b32_e32 v12, 2, v8
	v_add3_u32 v11, v3, v11, v12
	s_mov_b64 s[4:5], 0
.LBB9_18:                               ; =>This Inner Loop Header: Depth=1
	v_sub_u32_e32 v12, v10, v7
	v_lshrrev_b32_e32 v13, 31, v12
	v_add_u32_e32 v12, v12, v13
	v_ashrrev_i32_e32 v12, 1, v12
	v_add_u32_e32 v12, v12, v7
	v_not_b32_e32 v14, v12
	v_lshl_add_u32 v13, v12, 2, v9
	v_lshl_add_u32 v14, v14, 2, v11
	ds_read_b32 v13, v13
	ds_read_b32 v14, v14
	v_add_u32_e32 v15, 1, v12
	s_waitcnt lgkmcnt(0)
	v_cmp_lt_f32_e64 s[0:1], v14, v13
	v_cndmask_b32_e64 v10, v10, v12, s[0:1]
	v_cndmask_b32_e64 v7, v15, v7, s[0:1]
	v_cmp_ge_i32_e64 s[0:1], v7, v10
	s_or_b64 s[4:5], s[0:1], s[4:5]
	s_andn2_b64 exec, exec, s[4:5]
	s_cbranch_execnz .LBB9_18
; %bb.19:
	s_or_b64 exec, exec, s[4:5]
	s_or_b64 exec, exec, s[2:3]
	s_and_saveexec_b64 s[0:1], vcc
	s_cbranch_execz .LBB9_16
.LBB9_20:
	v_add_u32_e32 v8, v6, v8
	v_sub_u32_e32 v8, v8, v7
	v_lshl_add_u32 v3, v8, 2, v3
	v_lshl_add_u32 v9, v7, 2, v9
	ds_read_b32 v3, v3
	ds_read_b32 v9, v9
	v_add_co_u32_e32 v0, vcc, v0, v2
	v_add_u32_e32 v2, v7, v5
	v_addc_co_u32_e32 v1, vcc, 0, v1, vcc
	v_cmp_le_i32_e64 s[0:1], v6, v2
	s_waitcnt lgkmcnt(0)
	v_cmp_lt_f32_e64 s[2:3], v3, v9
	v_cmp_gt_i32_e32 vcc, v4, v8
	s_or_b64 s[0:1], s[0:1], s[2:3]
	s_and_b64 vcc, vcc, s[0:1]
	v_cndmask_b32_e32 v2, v9, v3, vcc
	global_store_dword v[0:1], v2, off
	s_endpgm
	.section	.rodata,"a",@progbits
	.p2align	6, 0x0
	.amdhsa_kernel _Z19sort_keys_segmentedILj64ELj16ELj1ELb0EfN10test_utils4lessEEvPT3_PKjT4_
		.amdhsa_group_segment_fixed_size 272
		.amdhsa_private_segment_fixed_size 0
		.amdhsa_kernarg_size 20
		.amdhsa_user_sgpr_count 6
		.amdhsa_user_sgpr_private_segment_buffer 1
		.amdhsa_user_sgpr_dispatch_ptr 0
		.amdhsa_user_sgpr_queue_ptr 0
		.amdhsa_user_sgpr_kernarg_segment_ptr 1
		.amdhsa_user_sgpr_dispatch_id 0
		.amdhsa_user_sgpr_flat_scratch_init 0
		.amdhsa_user_sgpr_kernarg_preload_length 0
		.amdhsa_user_sgpr_kernarg_preload_offset 0
		.amdhsa_user_sgpr_private_segment_size 0
		.amdhsa_uses_dynamic_stack 0
		.amdhsa_system_sgpr_private_segment_wavefront_offset 0
		.amdhsa_system_sgpr_workgroup_id_x 1
		.amdhsa_system_sgpr_workgroup_id_y 0
		.amdhsa_system_sgpr_workgroup_id_z 0
		.amdhsa_system_sgpr_workgroup_info 0
		.amdhsa_system_vgpr_workitem_id 0
		.amdhsa_next_free_vgpr 20
		.amdhsa_next_free_sgpr 7
		.amdhsa_accum_offset 20
		.amdhsa_reserve_vcc 1
		.amdhsa_reserve_flat_scratch 0
		.amdhsa_float_round_mode_32 0
		.amdhsa_float_round_mode_16_64 0
		.amdhsa_float_denorm_mode_32 3
		.amdhsa_float_denorm_mode_16_64 3
		.amdhsa_dx10_clamp 1
		.amdhsa_ieee_mode 1
		.amdhsa_fp16_overflow 0
		.amdhsa_tg_split 0
		.amdhsa_exception_fp_ieee_invalid_op 0
		.amdhsa_exception_fp_denorm_src 0
		.amdhsa_exception_fp_ieee_div_zero 0
		.amdhsa_exception_fp_ieee_overflow 0
		.amdhsa_exception_fp_ieee_underflow 0
		.amdhsa_exception_fp_ieee_inexact 0
		.amdhsa_exception_int_div_zero 0
	.end_amdhsa_kernel
	.section	.text._Z19sort_keys_segmentedILj64ELj16ELj1ELb0EfN10test_utils4lessEEvPT3_PKjT4_,"axG",@progbits,_Z19sort_keys_segmentedILj64ELj16ELj1ELb0EfN10test_utils4lessEEvPT3_PKjT4_,comdat
.Lfunc_end9:
	.size	_Z19sort_keys_segmentedILj64ELj16ELj1ELb0EfN10test_utils4lessEEvPT3_PKjT4_, .Lfunc_end9-_Z19sort_keys_segmentedILj64ELj16ELj1ELb0EfN10test_utils4lessEEvPT3_PKjT4_
                                        ; -- End function
	.section	.AMDGPU.csdata,"",@progbits
; Kernel info:
; codeLenInByte = 1484
; NumSgprs: 11
; NumVgprs: 20
; NumAgprs: 0
; TotalNumVgprs: 20
; ScratchSize: 0
; MemoryBound: 0
; FloatMode: 240
; IeeeMode: 1
; LDSByteSize: 272 bytes/workgroup (compile time only)
; SGPRBlocks: 1
; VGPRBlocks: 2
; NumSGPRsForWavesPerEU: 11
; NumVGPRsForWavesPerEU: 20
; AccumOffset: 20
; Occupancy: 8
; WaveLimiterHint : 0
; COMPUTE_PGM_RSRC2:SCRATCH_EN: 0
; COMPUTE_PGM_RSRC2:USER_SGPR: 6
; COMPUTE_PGM_RSRC2:TRAP_HANDLER: 0
; COMPUTE_PGM_RSRC2:TGID_X_EN: 1
; COMPUTE_PGM_RSRC2:TGID_Y_EN: 0
; COMPUTE_PGM_RSRC2:TGID_Z_EN: 0
; COMPUTE_PGM_RSRC2:TIDIG_COMP_CNT: 0
; COMPUTE_PGM_RSRC3_GFX90A:ACCUM_OFFSET: 4
; COMPUTE_PGM_RSRC3_GFX90A:TG_SPLIT: 0
	.section	.text._Z19sort_keys_segmentedILj256ELj2ELj1ELb0EjN10test_utils4lessEEvPT3_PKjT4_,"axG",@progbits,_Z19sort_keys_segmentedILj256ELj2ELj1ELb0EjN10test_utils4lessEEvPT3_PKjT4_,comdat
	.protected	_Z19sort_keys_segmentedILj256ELj2ELj1ELb0EjN10test_utils4lessEEvPT3_PKjT4_ ; -- Begin function _Z19sort_keys_segmentedILj256ELj2ELj1ELb0EjN10test_utils4lessEEvPT3_PKjT4_
	.globl	_Z19sort_keys_segmentedILj256ELj2ELj1ELb0EjN10test_utils4lessEEvPT3_PKjT4_
	.p2align	8
	.type	_Z19sort_keys_segmentedILj256ELj2ELj1ELb0EjN10test_utils4lessEEvPT3_PKjT4_,@function
_Z19sort_keys_segmentedILj256ELj2ELj1ELb0EjN10test_utils4lessEEvPT3_PKjT4_: ; @_Z19sort_keys_segmentedILj256ELj2ELj1ELb0EjN10test_utils4lessEEvPT3_PKjT4_
; %bb.0:
	s_load_dwordx4 s[0:3], s[4:5], 0x0
	v_lshrrev_b32_e32 v7, 1, v0
	v_lshl_or_b32 v0, s6, 7, v7
	v_mov_b32_e32 v1, 0
	v_lshlrev_b64 v[2:3], 2, v[0:1]
	s_waitcnt lgkmcnt(0)
	v_mov_b32_e32 v4, s3
	v_add_co_u32_e32 v2, vcc, s2, v2
	v_addc_co_u32_e32 v3, vcc, v4, v3, vcc
	global_load_dword v6, v[2:3], off
	v_mbcnt_lo_u32_b32 v2, -1, 0
	v_lshlrev_b32_e32 v0, 1, v0
	v_mbcnt_hi_u32_b32 v2, -1, v2
	v_lshlrev_b64 v[0:1], 2, v[0:1]
	v_and_b32_e32 v4, 1, v2
	v_mov_b32_e32 v2, s1
	v_add_co_u32_e32 v0, vcc, s0, v0
	v_addc_co_u32_e32 v1, vcc, v2, v1, vcc
	v_lshlrev_b32_e32 v2, 2, v4
                                        ; implicit-def: $vgpr5
	s_waitcnt vmcnt(0)
	v_cmp_lt_u32_e32 vcc, v4, v6
	s_and_saveexec_b64 s[2:3], vcc
	s_cbranch_execz .LBB10_2
; %bb.1:
	v_add_co_u32_e64 v8, s[0:1], v0, v2
	v_addc_co_u32_e64 v9, s[0:1], 0, v1, s[0:1]
	global_load_dword v5, v[8:9], off
.LBB10_2:
	s_or_b64 exec, exec, s[2:3]
	v_mad_u32_u24 v8, v7, 12, v2
	; wave barrier
	s_waitcnt vmcnt(0)
	ds_write_b32 v8, v5
	v_min_i32_e32 v8, v6, v4
	v_min_i32_e32 v4, 0, v6
	v_add_u32_e32 v5, 1, v4
	v_min_i32_e32 v5, v6, v5
	v_add_u32_e32 v9, 1, v5
	v_min_i32_e32 v6, v6, v9
	v_sub_u32_e32 v11, v6, v5
	v_lshlrev_b32_e32 v9, 2, v4
	v_mul_u32_u24_e32 v3, 12, v7
	v_sub_u32_e32 v10, v5, v4
	v_mad_u32_u24 v9, v7, 12, v9
	v_sub_u32_e32 v7, v8, v11
	v_cmp_ge_i32_e64 s[0:1], v8, v11
	v_cndmask_b32_e64 v7, 0, v7, s[0:1]
	v_min_i32_e32 v10, v8, v10
	v_cmp_lt_i32_e64 s[0:1], v7, v10
	; wave barrier
	s_and_saveexec_b64 s[2:3], s[0:1]
	s_cbranch_execnz .LBB10_5
; %bb.3:
	s_or_b64 exec, exec, s[2:3]
	s_and_saveexec_b64 s[0:1], vcc
	s_cbranch_execnz .LBB10_8
.LBB10_4:
	s_endpgm
.LBB10_5:
	v_lshlrev_b32_e32 v11, 2, v5
	v_lshlrev_b32_e32 v12, 2, v8
	v_add3_u32 v11, v3, v11, v12
	s_mov_b64 s[4:5], 0
.LBB10_6:                               ; =>This Inner Loop Header: Depth=1
	v_sub_u32_e32 v12, v10, v7
	v_lshrrev_b32_e32 v13, 31, v12
	v_add_u32_e32 v12, v12, v13
	v_ashrrev_i32_e32 v12, 1, v12
	v_add_u32_e32 v12, v12, v7
	v_not_b32_e32 v14, v12
	v_lshl_add_u32 v13, v12, 2, v9
	v_lshl_add_u32 v14, v14, 2, v11
	ds_read_b32 v13, v13
	ds_read_b32 v14, v14
	v_add_u32_e32 v15, 1, v12
	s_waitcnt lgkmcnt(0)
	v_cmp_lt_u32_e64 s[0:1], v14, v13
	v_cndmask_b32_e64 v10, v10, v12, s[0:1]
	v_cndmask_b32_e64 v7, v15, v7, s[0:1]
	v_cmp_ge_i32_e64 s[0:1], v7, v10
	s_or_b64 s[4:5], s[0:1], s[4:5]
	s_andn2_b64 exec, exec, s[4:5]
	s_cbranch_execnz .LBB10_6
; %bb.7:
	s_or_b64 exec, exec, s[4:5]
	s_or_b64 exec, exec, s[2:3]
	s_and_saveexec_b64 s[0:1], vcc
	s_cbranch_execz .LBB10_4
.LBB10_8:
	v_add_u32_e32 v8, v5, v8
	v_sub_u32_e32 v8, v8, v7
	v_lshl_add_u32 v3, v8, 2, v3
	v_lshl_add_u32 v9, v7, 2, v9
	ds_read_b32 v3, v3
	ds_read_b32 v9, v9
	v_add_co_u32_e32 v0, vcc, v0, v2
	v_add_u32_e32 v2, v7, v4
	v_addc_co_u32_e32 v1, vcc, 0, v1, vcc
	v_cmp_le_i32_e64 s[0:1], v5, v2
	s_waitcnt lgkmcnt(0)
	v_cmp_lt_u32_e64 s[2:3], v3, v9
	v_cmp_gt_i32_e32 vcc, v6, v8
	s_or_b64 s[0:1], s[0:1], s[2:3]
	s_and_b64 vcc, vcc, s[0:1]
	v_cndmask_b32_e32 v2, v9, v3, vcc
	global_store_dword v[0:1], v2, off
	s_endpgm
	.section	.rodata,"a",@progbits
	.p2align	6, 0x0
	.amdhsa_kernel _Z19sort_keys_segmentedILj256ELj2ELj1ELb0EjN10test_utils4lessEEvPT3_PKjT4_
		.amdhsa_group_segment_fixed_size 1536
		.amdhsa_private_segment_fixed_size 0
		.amdhsa_kernarg_size 20
		.amdhsa_user_sgpr_count 6
		.amdhsa_user_sgpr_private_segment_buffer 1
		.amdhsa_user_sgpr_dispatch_ptr 0
		.amdhsa_user_sgpr_queue_ptr 0
		.amdhsa_user_sgpr_kernarg_segment_ptr 1
		.amdhsa_user_sgpr_dispatch_id 0
		.amdhsa_user_sgpr_flat_scratch_init 0
		.amdhsa_user_sgpr_kernarg_preload_length 0
		.amdhsa_user_sgpr_kernarg_preload_offset 0
		.amdhsa_user_sgpr_private_segment_size 0
		.amdhsa_uses_dynamic_stack 0
		.amdhsa_system_sgpr_private_segment_wavefront_offset 0
		.amdhsa_system_sgpr_workgroup_id_x 1
		.amdhsa_system_sgpr_workgroup_id_y 0
		.amdhsa_system_sgpr_workgroup_id_z 0
		.amdhsa_system_sgpr_workgroup_info 0
		.amdhsa_system_vgpr_workitem_id 0
		.amdhsa_next_free_vgpr 16
		.amdhsa_next_free_sgpr 7
		.amdhsa_accum_offset 16
		.amdhsa_reserve_vcc 1
		.amdhsa_reserve_flat_scratch 0
		.amdhsa_float_round_mode_32 0
		.amdhsa_float_round_mode_16_64 0
		.amdhsa_float_denorm_mode_32 3
		.amdhsa_float_denorm_mode_16_64 3
		.amdhsa_dx10_clamp 1
		.amdhsa_ieee_mode 1
		.amdhsa_fp16_overflow 0
		.amdhsa_tg_split 0
		.amdhsa_exception_fp_ieee_invalid_op 0
		.amdhsa_exception_fp_denorm_src 0
		.amdhsa_exception_fp_ieee_div_zero 0
		.amdhsa_exception_fp_ieee_overflow 0
		.amdhsa_exception_fp_ieee_underflow 0
		.amdhsa_exception_fp_ieee_inexact 0
		.amdhsa_exception_int_div_zero 0
	.end_amdhsa_kernel
	.section	.text._Z19sort_keys_segmentedILj256ELj2ELj1ELb0EjN10test_utils4lessEEvPT3_PKjT4_,"axG",@progbits,_Z19sort_keys_segmentedILj256ELj2ELj1ELb0EjN10test_utils4lessEEvPT3_PKjT4_,comdat
.Lfunc_end10:
	.size	_Z19sort_keys_segmentedILj256ELj2ELj1ELb0EjN10test_utils4lessEEvPT3_PKjT4_, .Lfunc_end10-_Z19sort_keys_segmentedILj256ELj2ELj1ELb0EjN10test_utils4lessEEvPT3_PKjT4_
                                        ; -- End function
	.section	.AMDGPU.csdata,"",@progbits
; Kernel info:
; codeLenInByte = 516
; NumSgprs: 11
; NumVgprs: 16
; NumAgprs: 0
; TotalNumVgprs: 16
; ScratchSize: 0
; MemoryBound: 0
; FloatMode: 240
; IeeeMode: 1
; LDSByteSize: 1536 bytes/workgroup (compile time only)
; SGPRBlocks: 1
; VGPRBlocks: 1
; NumSGPRsForWavesPerEU: 11
; NumVGPRsForWavesPerEU: 16
; AccumOffset: 16
; Occupancy: 8
; WaveLimiterHint : 0
; COMPUTE_PGM_RSRC2:SCRATCH_EN: 0
; COMPUTE_PGM_RSRC2:USER_SGPR: 6
; COMPUTE_PGM_RSRC2:TRAP_HANDLER: 0
; COMPUTE_PGM_RSRC2:TGID_X_EN: 1
; COMPUTE_PGM_RSRC2:TGID_Y_EN: 0
; COMPUTE_PGM_RSRC2:TGID_Z_EN: 0
; COMPUTE_PGM_RSRC2:TIDIG_COMP_CNT: 0
; COMPUTE_PGM_RSRC3_GFX90A:ACCUM_OFFSET: 3
; COMPUTE_PGM_RSRC3_GFX90A:TG_SPLIT: 0
	.section	.text._Z26sort_keys_values_segmentedILj256ELj32ELj7ELb0EiN10test_utils16custom_test_typeIsEENS0_7greaterEEvPT3_PT4_PKjT5_,"axG",@progbits,_Z26sort_keys_values_segmentedILj256ELj32ELj7ELb0EiN10test_utils16custom_test_typeIsEENS0_7greaterEEvPT3_PT4_PKjT5_,comdat
	.protected	_Z26sort_keys_values_segmentedILj256ELj32ELj7ELb0EiN10test_utils16custom_test_typeIsEENS0_7greaterEEvPT3_PT4_PKjT5_ ; -- Begin function _Z26sort_keys_values_segmentedILj256ELj32ELj7ELb0EiN10test_utils16custom_test_typeIsEENS0_7greaterEEvPT3_PT4_PKjT5_
	.globl	_Z26sort_keys_values_segmentedILj256ELj32ELj7ELb0EiN10test_utils16custom_test_typeIsEENS0_7greaterEEvPT3_PT4_PKjT5_
	.p2align	8
	.type	_Z26sort_keys_values_segmentedILj256ELj32ELj7ELb0EiN10test_utils16custom_test_typeIsEENS0_7greaterEEvPT3_PT4_PKjT5_,@function
_Z26sort_keys_values_segmentedILj256ELj32ELj7ELb0EiN10test_utils16custom_test_typeIsEENS0_7greaterEEvPT3_PT4_PKjT5_: ; @_Z26sort_keys_values_segmentedILj256ELj32ELj7ELb0EiN10test_utils16custom_test_typeIsEENS0_7greaterEEvPT3_PT4_PKjT5_
; %bb.0:
	s_load_dwordx2 s[0:1], s[4:5], 0x10
	s_load_dwordx4 s[12:15], s[4:5], 0x0
	v_lshrrev_b32_e32 v38, 5, v0
	v_lshl_or_b32 v0, s6, 3, v38
	v_mov_b32_e32 v1, 0
	v_lshlrev_b64 v[2:3], 2, v[0:1]
	s_waitcnt lgkmcnt(0)
	v_mov_b32_e32 v4, s1
	v_add_co_u32_e32 v2, vcc, s0, v2
	v_addc_co_u32_e32 v3, vcc, v4, v3, vcc
	global_load_dword v15, v[2:3], off
	v_mbcnt_lo_u32_b32 v2, -1, 0
	s_movk_i32 s0, 0xe0
	v_mbcnt_hi_u32_b32 v31, -1, v2
	v_mul_lo_u32 v0, v0, s0
	v_and_b32_e32 v2, 31, v31
	v_lshlrev_b64 v[8:9], 2, v[0:1]
	v_mov_b32_e32 v0, s13
	v_add_co_u32_e32 v1, vcc, s12, v8
	v_mul_u32_u24_e32 v23, 7, v2
	v_addc_co_u32_e32 v0, vcc, v0, v9, vcc
	v_lshlrev_b32_e32 v39, 2, v23
	v_add_co_u32_e32 v32, vcc, v1, v39
	v_addc_co_u32_e32 v33, vcc, 0, v0, vcc
                                        ; implicit-def: $vgpr0_vgpr1_vgpr2_vgpr3_vgpr4_vgpr5_vgpr6
	s_waitcnt vmcnt(0)
	v_cmp_lt_u32_e32 vcc, v23, v15
	s_and_saveexec_b64 s[0:1], vcc
	s_cbranch_execz .LBB11_2
; %bb.1:
	global_load_dword v0, v[32:33], off
.LBB11_2:
	s_or_b64 exec, exec, s[0:1]
	v_add_u32_e32 v7, 1, v23
	v_cmp_lt_u32_e64 s[0:1], v7, v15
	s_and_saveexec_b64 s[2:3], s[0:1]
	s_cbranch_execz .LBB11_4
; %bb.3:
	global_load_dword v1, v[32:33], off offset:4
.LBB11_4:
	s_or_b64 exec, exec, s[2:3]
	v_add_u32_e32 v10, 2, v23
	v_cmp_lt_u32_e64 s[2:3], v10, v15
	s_and_saveexec_b64 s[4:5], s[2:3]
	s_cbranch_execz .LBB11_6
; %bb.5:
	global_load_dword v2, v[32:33], off offset:8
.LBB11_6:
	;; [unrolled: 8-line block ×6, first 2 shown]
	s_or_b64 exec, exec, s[12:13]
	v_mov_b32_e32 v16, s15
	v_add_co_u32_e64 v8, s[12:13], s14, v8
	v_addc_co_u32_e64 v9, s[12:13], v16, v9, s[12:13]
	v_add_co_u32_e64 v34, s[12:13], v8, v39
	v_mov_b32_e32 v16, 0
	v_addc_co_u32_e64 v35, s[12:13], 0, v9, s[12:13]
	v_mov_b32_e32 v36, 0
	s_and_saveexec_b64 s[12:13], vcc
	s_cbranch_execz .LBB11_16
; %bb.15:
	global_load_dword v36, v[34:35], off
.LBB11_16:
	s_or_b64 exec, exec, s[12:13]
	s_and_saveexec_b64 s[12:13], s[0:1]
	s_cbranch_execz .LBB11_18
; %bb.17:
	global_load_dword v16, v[34:35], off offset:4
.LBB11_18:
	s_or_b64 exec, exec, s[12:13]
	v_mov_b32_e32 v24, 0
	v_mov_b32_e32 v42, 0
	s_and_saveexec_b64 s[12:13], s[2:3]
	s_cbranch_execz .LBB11_20
; %bb.19:
	global_load_dword v42, v[34:35], off offset:8
.LBB11_20:
	s_or_b64 exec, exec, s[12:13]
	s_and_saveexec_b64 s[12:13], s[4:5]
	s_cbranch_execz .LBB11_22
; %bb.21:
	global_load_dword v24, v[34:35], off offset:12
.LBB11_22:
	s_or_b64 exec, exec, s[12:13]
	v_mov_b32_e32 v40, 0
	v_mov_b32_e32 v41, 0
	s_and_saveexec_b64 s[12:13], s[6:7]
	s_cbranch_execnz .LBB11_221
; %bb.23:
	s_or_b64 exec, exec, s[12:13]
	s_and_saveexec_b64 s[12:13], s[8:9]
	s_cbranch_execnz .LBB11_222
.LBB11_24:
	s_or_b64 exec, exec, s[12:13]
	v_mov_b32_e32 v37, 0
	s_and_saveexec_b64 s[12:13], s[10:11]
	s_cbranch_execz .LBB11_26
.LBB11_25:
	global_load_dword v37, v[34:35], off offset:24
.LBB11_26:
	s_or_b64 exec, exec, s[12:13]
	v_cmp_lt_i32_e64 s[20:21], v13, v15
	v_cmp_lt_i32_e64 s[22:23], v14, v15
	;; [unrolled: 1-line block ×3, first 2 shown]
	s_or_b64 s[20:21], s[22:23], s[20:21]
	v_cmp_lt_i32_e64 s[16:17], v11, v15
	s_or_b64 s[18:19], s[20:21], s[18:19]
	v_cmp_lt_i32_e64 s[14:15], v10, v15
	;; [unrolled: 2-line block ×3, first 2 shown]
	s_or_b64 s[14:15], s[16:17], s[14:15]
	v_bfrev_b32_e32 v7, 1
	s_or_b64 s[12:13], s[14:15], s[12:13]
	s_waitcnt vmcnt(0)
	v_cndmask_b32_e64 v6, v7, v6, s[22:23]
	v_cndmask_b32_e64 v5, v7, v5, s[20:21]
	;; [unrolled: 1-line block ×6, first 2 shown]
	v_cmp_lt_i32_e64 s[12:13], v23, v15
	s_and_saveexec_b64 s[18:19], s[12:13]
	s_cbranch_execz .LBB11_66
; %bb.27:
	v_mov_b32_e32 v14, v6
	v_cmp_gt_i32_e64 s[12:13], v1, v0
	v_mov_b32_e32 v43, v16
	v_mov_b32_e32 v13, v5
	v_mov_b32_e32 v12, v4
	v_mov_b32_e32 v11, v3
	v_mov_b32_e32 v10, v2
	v_mov_b32_e32 v9, v1
	v_mov_b32_e32 v8, v0
	v_mov_b32_e32 v44, v0
	s_and_saveexec_b64 s[14:15], s[12:13]
; %bb.28:
	v_mov_b32_e32 v8, v1
	v_mov_b32_e32 v9, v0
	v_mov_b32_e32 v10, v2
	v_mov_b32_e32 v11, v3
	v_mov_b32_e32 v12, v4
	v_mov_b32_e32 v13, v5
	v_mov_b32_e32 v14, v6
	v_mov_b32_e32 v43, v36
	v_mov_b32_e32 v36, v16
	v_mov_b32_e32 v44, v1
	v_mov_b32_e32 v1, v0
; %bb.29:
	s_or_b64 exec, exec, s[14:15]
	v_mov_b32_e32 v22, v14
	v_cmp_gt_i32_e64 s[12:13], v11, v10
	v_mov_b32_e32 v0, v24
	v_mov_b32_e32 v21, v13
	v_mov_b32_e32 v20, v12
	v_mov_b32_e32 v19, v11
	v_mov_b32_e32 v18, v10
	v_mov_b32_e32 v17, v9
	v_mov_b32_e32 v16, v8
	v_mov_b32_e32 v45, v11
	s_and_saveexec_b64 s[14:15], s[12:13]
; %bb.30:
	v_mov_b32_e32 v16, v8
	v_mov_b32_e32 v17, v9
	v_mov_b32_e32 v18, v11
	v_mov_b32_e32 v19, v10
	v_mov_b32_e32 v20, v12
	v_mov_b32_e32 v21, v13
	v_mov_b32_e32 v22, v14
	v_mov_b32_e32 v0, v42
	v_mov_b32_e32 v42, v24
	v_mov_b32_e32 v45, v10
	v_mov_b32_e32 v10, v11
; %bb.31:
	s_or_b64 exec, exec, s[14:15]
	;; [unrolled: 25-line block ×3, first 2 shown]
	v_cmp_gt_i32_e64 s[12:13], v10, v1
	v_mov_b32_e32 v9, v42
	v_mov_b32_e32 v16, v10
	s_and_saveexec_b64 s[14:15], s[12:13]
	s_xor_b64 s[12:13], exec, s[14:15]
; %bb.34:
	v_mov_b32_e32 v25, v10
	v_mov_b32_e32 v26, v1
	;; [unrolled: 1-line block ×6, first 2 shown]
; %bb.35:
	s_or_b64 exec, exec, s[12:13]
	v_cmp_gt_i32_e64 s[12:13], v20, v45
	v_mov_b32_e32 v10, v41
	v_mov_b32_e32 v18, v20
	s_and_saveexec_b64 s[14:15], s[12:13]
; %bb.36:
	v_mov_b32_e32 v27, v20
	v_mov_b32_e32 v28, v45
	;; [unrolled: 1-line block ×6, first 2 shown]
; %bb.37:
	s_or_b64 exec, exec, s[14:15]
	v_mov_b32_e32 v2, v24
	v_cmp_gt_i32_e64 s[12:13], v30, v13
	v_mov_b32_e32 v3, v25
	v_mov_b32_e32 v4, v26
	;; [unrolled: 1-line block ×7, first 2 shown]
	s_and_saveexec_b64 s[14:15], s[12:13]
	s_cbranch_execz .LBB11_39
; %bb.38:
	v_mov_b32_e32 v29, v30
	v_mov_b32_e32 v2, v24
	;; [unrolled: 1-line block ×10, first 2 shown]
	v_swap_b32 v46, v37
	v_mov_b32_e32 v14, v13
	v_mov_b32_e32 v13, v30
.LBB11_39:
	s_or_b64 exec, exec, s[14:15]
	v_cmp_gt_i32_e64 s[12:13], v1, v44
	v_mov_b32_e32 v11, v43
	v_mov_b32_e32 v17, v44
	s_and_saveexec_b64 s[14:15], s[12:13]
; %bb.40:
	v_mov_b32_e32 v2, v1
	v_mov_b32_e32 v3, v44
	v_mov_b32_e32 v11, v36
	v_mov_b32_e32 v36, v43
	v_mov_b32_e32 v17, v1
	v_mov_b32_e32 v1, v44
; %bb.41:
	s_or_b64 exec, exec, s[14:15]
	v_cmp_gt_i32_e64 s[12:13], v45, v16
	v_mov_b32_e32 v12, v0
	v_mov_b32_e32 v19, v45
	s_and_saveexec_b64 s[14:15], s[12:13]
; %bb.42:
	v_mov_b32_e32 v4, v45
	v_mov_b32_e32 v5, v16
	v_mov_b32_e32 v12, v9
	v_mov_b32_e32 v9, v0
	v_mov_b32_e32 v19, v16
	v_mov_b32_e32 v16, v45
; %bb.43:
	;; [unrolled: 13-line block ×5, first 2 shown]
	s_or_b64 exec, exec, s[14:15]
	v_cmp_gt_i32_e64 s[12:13], v14, v20
	v_mov_b32_e32 v10, v14
	s_and_saveexec_b64 s[14:15], s[12:13]
; %bb.50:
	v_mov_b32_e32 v0, v22
	v_mov_b32_e32 v7, v14
	v_mov_b32_e32 v8, v20
	v_swap_b32 v22, v37
	v_mov_b32_e32 v10, v20
	v_mov_b32_e32 v20, v14
; %bb.51:
	s_or_b64 exec, exec, s[14:15]
	v_cmp_gt_i32_e64 s[12:13], v1, v17
	v_mov_b32_e32 v0, v11
	v_mov_b32_e32 v14, v17
	s_and_saveexec_b64 s[14:15], s[12:13]
; %bb.52:
	v_mov_b32_e32 v2, v1
	v_mov_b32_e32 v3, v17
	v_mov_b32_e32 v0, v36
	v_mov_b32_e32 v36, v11
	v_mov_b32_e32 v14, v1
	v_mov_b32_e32 v1, v17
; %bb.53:
	s_or_b64 exec, exec, s[14:15]
	v_cmp_gt_i32_e64 s[12:13], v19, v21
	v_mov_b32_e32 v11, v12
	v_mov_b32_e32 v17, v19
	s_and_saveexec_b64 s[14:15], s[12:13]
; %bb.54:
	v_mov_b32_e32 v4, v19
	v_mov_b32_e32 v5, v21
	v_mov_b32_e32 v11, v13
	v_mov_b32_e32 v13, v12
	;; [unrolled: 13-line block ×5, first 2 shown]
	v_mov_b32_e32 v20, v17
	v_mov_b32_e32 v17, v16
; %bb.61:
	s_or_b64 exec, exec, s[14:15]
	v_cmp_gt_i32_e64 s[12:13], v10, v12
	s_and_saveexec_b64 s[14:15], s[12:13]
; %bb.62:
	v_mov_b32_e32 v9, v40
	v_mov_b32_e32 v7, v10
	;; [unrolled: 1-line block ×3, first 2 shown]
	v_swap_b32 v40, v37
	v_mov_b32_e32 v12, v10
; %bb.63:
	s_or_b64 exec, exec, s[14:15]
	v_cmp_gt_i32_e64 s[12:13], v1, v14
	v_cmp_gt_i32_e64 s[14:15], v17, v19
	v_cndmask_b32_e64 v3, v3, v14, s[12:13]
	v_cndmask_b32_e64 v2, v2, v1, s[12:13]
	v_cndmask_b32_e64 v5, v5, v19, s[14:15]
	v_cndmask_b32_e64 v4, v4, v17, s[14:15]
	v_cmp_gt_i32_e64 s[16:17], v12, v20
	v_mov_b32_e32 v41, v13
	s_and_saveexec_b64 s[20:21], s[16:17]
; %bb.64:
	v_mov_b32_e32 v6, v12
	v_mov_b32_e32 v7, v20
	;; [unrolled: 1-line block ×4, first 2 shown]
; %bb.65:
	s_or_b64 exec, exec, s[20:21]
	v_cndmask_b32_e64 v16, v0, v36, s[12:13]
	v_cndmask_b32_e64 v36, v36, v0, s[12:13]
	v_mov_b32_e32 v0, v2
	v_cndmask_b32_e64 v24, v11, v18, s[14:15]
	v_cndmask_b32_e64 v42, v18, v11, s[14:15]
	v_mov_b32_e32 v1, v3
	v_mov_b32_e32 v2, v4
	;; [unrolled: 1-line block ×6, first 2 shown]
.LBB11_66:
	s_or_b64 exec, exec, s[18:19]
	s_movk_i32 s14, 0x384
	v_mad_u32_u24 v8, v38, s14, v39
	; wave barrier
	ds_write2_b32 v8, v0, v1 offset1:1
	ds_write2_b32 v8, v2, v3 offset0:2 offset1:3
	ds_write2_b32 v8, v4, v5 offset0:4 offset1:5
	ds_write_b32 v8, v6 offset:24
	v_and_b32_e32 v0, 30, v31
	v_mul_u32_u24_e32 v0, 7, v0
	v_and_b32_e32 v1, 1, v31
	v_min_i32_e32 v4, v15, v0
	v_cmp_eq_u32_e64 s[12:13], 1, v1
	v_add_u32_e32 v0, 7, v4
	v_cndmask_b32_e64 v1, 0, 7, s[12:13]
	v_min_i32_e32 v0, v15, v0
	v_min_i32_e32 v2, v15, v1
	v_add_u32_e32 v1, 7, v0
	v_min_i32_e32 v1, v15, v1
	v_sub_u32_e32 v6, v1, v0
	v_sub_u32_e32 v5, v0, v4
	;; [unrolled: 1-line block ×3, first 2 shown]
	v_cmp_ge_i32_e64 s[12:13], v2, v6
	v_lshlrev_b32_e32 v3, 2, v4
	v_cndmask_b32_e64 v6, 0, v9, s[12:13]
	v_min_i32_e32 v5, v2, v5
	v_mul_u32_u24_e32 v7, 0x384, v38
	v_mad_u32_u24 v3, v38, s14, v3
	v_cmp_lt_i32_e64 s[12:13], v6, v5
	; wave barrier
	s_and_saveexec_b64 s[14:15], s[12:13]
	s_cbranch_execz .LBB11_70
; %bb.67:
	v_lshlrev_b32_e32 v9, 2, v0
	v_lshlrev_b32_e32 v10, 2, v2
	v_add3_u32 v9, v7, v9, v10
	s_mov_b64 s[16:17], 0
.LBB11_68:                              ; =>This Inner Loop Header: Depth=1
	v_sub_u32_e32 v10, v5, v6
	v_lshrrev_b32_e32 v11, 31, v10
	v_add_u32_e32 v10, v10, v11
	v_ashrrev_i32_e32 v10, 1, v10
	v_add_u32_e32 v10, v10, v6
	v_not_b32_e32 v12, v10
	v_lshl_add_u32 v11, v10, 2, v3
	v_lshl_add_u32 v12, v12, 2, v9
	ds_read_b32 v11, v11
	ds_read_b32 v12, v12
	v_add_u32_e32 v13, 1, v10
	s_waitcnt lgkmcnt(0)
	v_cmp_gt_i32_e64 s[12:13], v12, v11
	v_cndmask_b32_e64 v5, v5, v10, s[12:13]
	v_cndmask_b32_e64 v6, v13, v6, s[12:13]
	v_cmp_ge_i32_e64 s[12:13], v6, v5
	s_or_b64 s[16:17], s[12:13], s[16:17]
	s_andn2_b64 exec, exec, s[16:17]
	s_cbranch_execnz .LBB11_68
; %bb.69:
	s_or_b64 exec, exec, s[16:17]
.LBB11_70:
	s_or_b64 exec, exec, s[14:15]
	v_add_u32_e32 v2, v0, v2
	v_sub_u32_e32 v2, v2, v6
	v_lshl_add_u32 v11, v6, 2, v3
	v_lshl_add_u32 v10, v2, 2, v7
	ds_read_b32 v3, v11
	ds_read_b32 v5, v10
	v_add_u32_e32 v4, v6, v4
	v_cmp_le_i32_e64 s[14:15], v0, v4
	v_cmp_gt_i32_e64 s[12:13], v1, v2
                                        ; implicit-def: $vgpr6
                                        ; implicit-def: $vgpr9
	s_waitcnt lgkmcnt(0)
	v_cmp_gt_i32_e64 s[16:17], v5, v3
	s_or_b64 s[14:15], s[14:15], s[16:17]
	s_and_b64 s[12:13], s[12:13], s[14:15]
	s_xor_b64 s[14:15], s[12:13], -1
	s_and_saveexec_b64 s[16:17], s[14:15]
	s_xor_b64 s[14:15], exec, s[16:17]
	s_cbranch_execz .LBB11_72
; %bb.71:
	ds_read_b32 v9, v11 offset:4
	v_mov_b32_e32 v6, v5
                                        ; implicit-def: $vgpr10
.LBB11_72:
	s_andn2_saveexec_b64 s[14:15], s[14:15]
	s_cbranch_execz .LBB11_74
; %bb.73:
	ds_read_b32 v6, v10 offset:4
	s_waitcnt lgkmcnt(1)
	v_mov_b32_e32 v9, v3
.LBB11_74:
	s_or_b64 exec, exec, s[14:15]
	v_add_u32_e32 v11, 1, v4
	v_add_u32_e32 v10, 1, v2
	v_cndmask_b32_e64 v11, v11, v4, s[12:13]
	v_cndmask_b32_e64 v10, v2, v10, s[12:13]
	v_cmp_ge_i32_e64 s[16:17], v11, v0
	s_waitcnt lgkmcnt(0)
	v_cmp_gt_i32_e64 s[18:19], v6, v9
	v_cmp_lt_i32_e64 s[14:15], v10, v1
	s_or_b64 s[16:17], s[16:17], s[18:19]
	s_and_b64 s[14:15], s[14:15], s[16:17]
	s_xor_b64 s[16:17], s[14:15], -1
                                        ; implicit-def: $vgpr12
	s_and_saveexec_b64 s[18:19], s[16:17]
	s_xor_b64 s[16:17], exec, s[18:19]
	s_cbranch_execz .LBB11_76
; %bb.75:
	v_lshl_add_u32 v12, v11, 2, v7
	ds_read_b32 v12, v12 offset:4
.LBB11_76:
	s_or_saveexec_b64 s[16:17], s[16:17]
	v_mov_b32_e32 v13, v6
	s_xor_b64 exec, exec, s[16:17]
	s_cbranch_execz .LBB11_78
; %bb.77:
	s_waitcnt lgkmcnt(0)
	v_lshl_add_u32 v12, v10, 2, v7
	ds_read_b32 v13, v12 offset:4
	v_mov_b32_e32 v12, v9
.LBB11_78:
	s_or_b64 exec, exec, s[16:17]
	v_add_u32_e32 v17, 1, v11
	v_add_u32_e32 v14, 1, v10
	v_cndmask_b32_e64 v17, v17, v11, s[14:15]
	v_cndmask_b32_e64 v14, v10, v14, s[14:15]
	v_cmp_ge_i32_e64 s[18:19], v17, v0
	s_waitcnt lgkmcnt(0)
	v_cmp_gt_i32_e64 s[20:21], v13, v12
	v_cmp_lt_i32_e64 s[16:17], v14, v1
	s_or_b64 s[18:19], s[18:19], s[20:21]
	s_and_b64 s[16:17], s[16:17], s[18:19]
	s_xor_b64 s[18:19], s[16:17], -1
                                        ; implicit-def: $vgpr18
	s_and_saveexec_b64 s[20:21], s[18:19]
	s_xor_b64 s[18:19], exec, s[20:21]
	s_cbranch_execz .LBB11_80
; %bb.79:
	v_lshl_add_u32 v18, v17, 2, v7
	ds_read_b32 v18, v18 offset:4
.LBB11_80:
	s_or_saveexec_b64 s[18:19], s[18:19]
	v_mov_b32_e32 v19, v13
	s_xor_b64 exec, exec, s[18:19]
	s_cbranch_execz .LBB11_82
; %bb.81:
	s_waitcnt lgkmcnt(0)
	v_lshl_add_u32 v18, v14, 2, v7
	ds_read_b32 v19, v18 offset:4
	v_mov_b32_e32 v18, v12
.LBB11_82:
	s_or_b64 exec, exec, s[18:19]
	v_add_u32_e32 v21, 1, v17
	v_add_u32_e32 v20, 1, v14
	v_cndmask_b32_e64 v21, v21, v17, s[16:17]
	v_cndmask_b32_e64 v20, v14, v20, s[16:17]
	v_cmp_ge_i32_e64 s[20:21], v21, v0
	s_waitcnt lgkmcnt(0)
	v_cmp_gt_i32_e64 s[22:23], v19, v18
	v_cmp_lt_i32_e64 s[18:19], v20, v1
	s_or_b64 s[20:21], s[20:21], s[22:23]
	s_and_b64 s[18:19], s[18:19], s[20:21]
	s_xor_b64 s[20:21], s[18:19], -1
                                        ; implicit-def: $vgpr22
	s_and_saveexec_b64 s[22:23], s[20:21]
	s_xor_b64 s[20:21], exec, s[22:23]
	s_cbranch_execz .LBB11_84
; %bb.83:
	v_lshl_add_u32 v22, v21, 2, v7
	ds_read_b32 v22, v22 offset:4
.LBB11_84:
	s_or_saveexec_b64 s[20:21], s[20:21]
	v_mov_b32_e32 v25, v19
	s_xor_b64 exec, exec, s[20:21]
	s_cbranch_execz .LBB11_86
; %bb.85:
	s_waitcnt lgkmcnt(0)
	v_lshl_add_u32 v22, v20, 2, v7
	ds_read_b32 v25, v22 offset:4
	v_mov_b32_e32 v22, v18
.LBB11_86:
	s_or_b64 exec, exec, s[20:21]
	v_add_u32_e32 v27, 1, v21
	v_add_u32_e32 v26, 1, v20
	v_cndmask_b32_e64 v27, v27, v21, s[18:19]
	v_cndmask_b32_e64 v26, v20, v26, s[18:19]
	v_cmp_ge_i32_e64 s[22:23], v27, v0
	s_waitcnt lgkmcnt(0)
	v_cmp_gt_i32_e64 s[24:25], v25, v22
	v_cmp_lt_i32_e64 s[20:21], v26, v1
	s_or_b64 s[22:23], s[22:23], s[24:25]
	s_and_b64 s[20:21], s[20:21], s[22:23]
	s_xor_b64 s[22:23], s[20:21], -1
                                        ; implicit-def: $vgpr28
	s_and_saveexec_b64 s[24:25], s[22:23]
	s_xor_b64 s[22:23], exec, s[24:25]
	s_cbranch_execz .LBB11_88
; %bb.87:
	v_lshl_add_u32 v28, v27, 2, v7
	ds_read_b32 v28, v28 offset:4
.LBB11_88:
	s_or_saveexec_b64 s[22:23], s[22:23]
	v_mov_b32_e32 v29, v25
	s_xor_b64 exec, exec, s[22:23]
	s_cbranch_execz .LBB11_90
; %bb.89:
	s_waitcnt lgkmcnt(0)
	v_lshl_add_u32 v28, v26, 2, v7
	ds_read_b32 v29, v28 offset:4
	v_mov_b32_e32 v28, v22
.LBB11_90:
	s_or_b64 exec, exec, s[22:23]
	v_add_u32_e32 v39, 1, v27
	v_add_u32_e32 v30, 1, v26
	v_cndmask_b32_e64 v39, v39, v27, s[20:21]
	v_cndmask_b32_e64 v38, v26, v30, s[20:21]
	v_cmp_ge_i32_e64 s[24:25], v39, v0
	s_waitcnt lgkmcnt(0)
	v_cmp_gt_i32_e64 s[26:27], v29, v28
	v_cmp_lt_i32_e64 s[22:23], v38, v1
	s_or_b64 s[24:25], s[24:25], s[26:27]
	s_and_b64 s[22:23], s[22:23], s[24:25]
	s_xor_b64 s[24:25], s[22:23], -1
                                        ; implicit-def: $vgpr30
	s_and_saveexec_b64 s[26:27], s[24:25]
	s_xor_b64 s[24:25], exec, s[26:27]
	s_cbranch_execz .LBB11_92
; %bb.91:
	v_lshl_add_u32 v30, v39, 2, v7
	ds_read_b32 v30, v30 offset:4
.LBB11_92:
	s_or_saveexec_b64 s[24:25], s[24:25]
	v_mov_b32_e32 v43, v29
	s_xor_b64 exec, exec, s[24:25]
	s_cbranch_execz .LBB11_94
; %bb.93:
	s_waitcnt lgkmcnt(0)
	v_lshl_add_u32 v30, v38, 2, v7
	ds_read_b32 v43, v30 offset:4
	v_mov_b32_e32 v30, v28
.LBB11_94:
	s_or_b64 exec, exec, s[24:25]
	v_add_u32_e32 v44, 1, v39
	v_cndmask_b32_e64 v28, v28, v29, s[22:23]
	v_add_u32_e32 v29, 1, v38
	v_cndmask_b32_e64 v44, v44, v39, s[22:23]
	v_cndmask_b32_e64 v29, v38, v29, s[22:23]
	;; [unrolled: 1-line block ×6, first 2 shown]
	v_cmp_ge_i32_e64 s[14:15], v44, v0
	s_waitcnt lgkmcnt(0)
	v_cmp_gt_i32_e64 s[16:17], v43, v30
	v_cndmask_b32_e64 v10, v3, v5, s[12:13]
	v_cndmask_b32_e64 v2, v4, v2, s[12:13]
	v_cmp_lt_i32_e64 s[12:13], v29, v1
	s_or_b64 s[14:15], s[14:15], s[16:17]
	v_cndmask_b32_e64 v38, v39, v38, s[22:23]
	v_cndmask_b32_e64 v22, v22, v25, s[20:21]
	;; [unrolled: 1-line block ×5, first 2 shown]
	s_and_b64 s[12:13], s[12:13], s[14:15]
	v_cndmask_b32_e64 v0, v44, v29, s[12:13]
	v_lshl_add_u32 v1, v2, 2, v7
	v_lshl_add_u32 v2, v6, 2, v7
	v_lshl_add_u32 v3, v13, 2, v7
	v_lshl_add_u32 v4, v19, 2, v7
	v_lshl_add_u32 v5, v25, 2, v7
	v_lshl_add_u32 v6, v38, 2, v7
	v_cndmask_b32_e64 v11, v30, v43, s[12:13]
	; wave barrier
	ds_write2_b32 v8, v36, v16 offset1:1
	ds_write2_b32 v8, v42, v24 offset0:2 offset1:3
	ds_write2_b32 v8, v41, v40 offset0:4 offset1:5
	ds_write_b32 v8, v37 offset:24
	; wave barrier
	v_lshl_add_u32 v13, v0, 2, v7
	ds_read_b32 v0, v1
	ds_read_b32 v1, v2
	;; [unrolled: 1-line block ×7, first 2 shown]
	; wave barrier
	ds_write2_b32 v8, v10, v9 offset1:1
	ds_write2_b32 v8, v12, v18 offset0:2 offset1:3
	ds_write2_b32 v8, v22, v28 offset0:4 offset1:5
	ds_write_b32 v8, v11 offset:24
	v_and_b32_e32 v9, 28, v31
	v_mul_u32_u24_e32 v9, 7, v9
	v_min_i32_e32 v13, v15, v9
	v_and_b32_e32 v10, 3, v31
	v_add_u32_e32 v9, 14, v13
	v_mul_u32_u24_e32 v10, 7, v10
	v_min_i32_e32 v9, v15, v9
	v_min_i32_e32 v11, v15, v10
	v_add_u32_e32 v10, 14, v9
	v_min_i32_e32 v10, v15, v10
	v_sub_u32_e32 v16, v10, v9
	v_sub_u32_e32 v14, v9, v13
	;; [unrolled: 1-line block ×3, first 2 shown]
	v_cmp_ge_i32_e64 s[12:13], v11, v16
	v_cndmask_b32_e64 v16, 0, v17, s[12:13]
	v_min_i32_e32 v14, v11, v14
	v_lshl_add_u32 v12, v13, 2, v7
	v_cmp_lt_i32_e64 s[12:13], v16, v14
	; wave barrier
	s_and_saveexec_b64 s[14:15], s[12:13]
	s_cbranch_execz .LBB11_98
; %bb.95:
	v_lshlrev_b32_e32 v17, 2, v9
	v_lshlrev_b32_e32 v18, 2, v11
	v_add3_u32 v17, v7, v17, v18
	s_mov_b64 s[16:17], 0
.LBB11_96:                              ; =>This Inner Loop Header: Depth=1
	v_sub_u32_e32 v18, v14, v16
	v_lshrrev_b32_e32 v19, 31, v18
	v_add_u32_e32 v18, v18, v19
	v_ashrrev_i32_e32 v18, 1, v18
	v_add_u32_e32 v18, v18, v16
	v_not_b32_e32 v20, v18
	v_lshl_add_u32 v19, v18, 2, v12
	v_lshl_add_u32 v20, v20, 2, v17
	ds_read_b32 v19, v19
	ds_read_b32 v20, v20
	v_add_u32_e32 v21, 1, v18
	s_waitcnt lgkmcnt(0)
	v_cmp_gt_i32_e64 s[12:13], v20, v19
	v_cndmask_b32_e64 v14, v14, v18, s[12:13]
	v_cndmask_b32_e64 v16, v21, v16, s[12:13]
	v_cmp_ge_i32_e64 s[12:13], v16, v14
	s_or_b64 s[16:17], s[12:13], s[16:17]
	s_andn2_b64 exec, exec, s[16:17]
	s_cbranch_execnz .LBB11_96
; %bb.97:
	s_or_b64 exec, exec, s[16:17]
.LBB11_98:
	s_or_b64 exec, exec, s[14:15]
	v_add_u32_e32 v11, v9, v11
	v_sub_u32_e32 v11, v11, v16
	v_lshl_add_u32 v19, v16, 2, v12
	v_lshl_add_u32 v18, v11, 2, v7
	ds_read_b32 v12, v19
	ds_read_b32 v14, v18
	v_add_u32_e32 v13, v16, v13
	v_cmp_le_i32_e64 s[14:15], v9, v13
	v_cmp_gt_i32_e64 s[12:13], v10, v11
                                        ; implicit-def: $vgpr16
                                        ; implicit-def: $vgpr17
	s_waitcnt lgkmcnt(0)
	v_cmp_gt_i32_e64 s[16:17], v14, v12
	s_or_b64 s[14:15], s[14:15], s[16:17]
	s_and_b64 s[12:13], s[12:13], s[14:15]
	s_xor_b64 s[14:15], s[12:13], -1
	s_and_saveexec_b64 s[16:17], s[14:15]
	s_xor_b64 s[14:15], exec, s[16:17]
	s_cbranch_execz .LBB11_100
; %bb.99:
	ds_read_b32 v17, v19 offset:4
	v_mov_b32_e32 v16, v14
                                        ; implicit-def: $vgpr18
.LBB11_100:
	s_andn2_saveexec_b64 s[14:15], s[14:15]
	s_cbranch_execz .LBB11_102
; %bb.101:
	ds_read_b32 v16, v18 offset:4
	s_waitcnt lgkmcnt(1)
	v_mov_b32_e32 v17, v12
.LBB11_102:
	s_or_b64 exec, exec, s[14:15]
	v_add_u32_e32 v19, 1, v13
	v_add_u32_e32 v18, 1, v11
	v_cndmask_b32_e64 v19, v19, v13, s[12:13]
	v_cndmask_b32_e64 v18, v11, v18, s[12:13]
	v_cmp_ge_i32_e64 s[16:17], v19, v9
	s_waitcnt lgkmcnt(0)
	v_cmp_gt_i32_e64 s[18:19], v16, v17
	v_cmp_lt_i32_e64 s[14:15], v18, v10
	s_or_b64 s[16:17], s[16:17], s[18:19]
	s_and_b64 s[14:15], s[14:15], s[16:17]
	s_xor_b64 s[16:17], s[14:15], -1
                                        ; implicit-def: $vgpr20
	s_and_saveexec_b64 s[18:19], s[16:17]
	s_xor_b64 s[16:17], exec, s[18:19]
	s_cbranch_execz .LBB11_104
; %bb.103:
	v_lshl_add_u32 v20, v19, 2, v7
	ds_read_b32 v20, v20 offset:4
.LBB11_104:
	s_or_saveexec_b64 s[16:17], s[16:17]
	v_mov_b32_e32 v21, v16
	s_xor_b64 exec, exec, s[16:17]
	s_cbranch_execz .LBB11_106
; %bb.105:
	s_waitcnt lgkmcnt(0)
	v_lshl_add_u32 v20, v18, 2, v7
	ds_read_b32 v21, v20 offset:4
	v_mov_b32_e32 v20, v17
.LBB11_106:
	s_or_b64 exec, exec, s[16:17]
	v_add_u32_e32 v24, 1, v19
	v_add_u32_e32 v22, 1, v18
	v_cndmask_b32_e64 v24, v24, v19, s[14:15]
	v_cndmask_b32_e64 v22, v18, v22, s[14:15]
	v_cmp_ge_i32_e64 s[18:19], v24, v9
	s_waitcnt lgkmcnt(0)
	v_cmp_gt_i32_e64 s[20:21], v21, v20
	v_cmp_lt_i32_e64 s[16:17], v22, v10
	s_or_b64 s[18:19], s[18:19], s[20:21]
	s_and_b64 s[16:17], s[16:17], s[18:19]
	s_xor_b64 s[18:19], s[16:17], -1
                                        ; implicit-def: $vgpr25
	s_and_saveexec_b64 s[20:21], s[18:19]
	s_xor_b64 s[18:19], exec, s[20:21]
	s_cbranch_execz .LBB11_108
; %bb.107:
	v_lshl_add_u32 v25, v24, 2, v7
	ds_read_b32 v25, v25 offset:4
.LBB11_108:
	s_or_saveexec_b64 s[18:19], s[18:19]
	v_mov_b32_e32 v26, v21
	s_xor_b64 exec, exec, s[18:19]
	s_cbranch_execz .LBB11_110
; %bb.109:
	s_waitcnt lgkmcnt(0)
	v_lshl_add_u32 v25, v22, 2, v7
	ds_read_b32 v26, v25 offset:4
	v_mov_b32_e32 v25, v20
.LBB11_110:
	s_or_b64 exec, exec, s[18:19]
	v_add_u32_e32 v28, 1, v24
	v_add_u32_e32 v27, 1, v22
	v_cndmask_b32_e64 v28, v28, v24, s[16:17]
	v_cndmask_b32_e64 v27, v22, v27, s[16:17]
	v_cmp_ge_i32_e64 s[20:21], v28, v9
	s_waitcnt lgkmcnt(0)
	v_cmp_gt_i32_e64 s[22:23], v26, v25
	v_cmp_lt_i32_e64 s[18:19], v27, v10
	s_or_b64 s[20:21], s[20:21], s[22:23]
	s_and_b64 s[18:19], s[18:19], s[20:21]
	s_xor_b64 s[20:21], s[18:19], -1
                                        ; implicit-def: $vgpr29
	s_and_saveexec_b64 s[22:23], s[20:21]
	s_xor_b64 s[20:21], exec, s[22:23]
	s_cbranch_execz .LBB11_112
; %bb.111:
	v_lshl_add_u32 v29, v28, 2, v7
	ds_read_b32 v29, v29 offset:4
.LBB11_112:
	s_or_saveexec_b64 s[20:21], s[20:21]
	v_mov_b32_e32 v30, v26
	s_xor_b64 exec, exec, s[20:21]
	s_cbranch_execz .LBB11_114
; %bb.113:
	s_waitcnt lgkmcnt(0)
	v_lshl_add_u32 v29, v27, 2, v7
	ds_read_b32 v30, v29 offset:4
	v_mov_b32_e32 v29, v25
.LBB11_114:
	s_or_b64 exec, exec, s[20:21]
	v_add_u32_e32 v37, 1, v28
	v_add_u32_e32 v36, 1, v27
	v_cndmask_b32_e64 v37, v37, v28, s[18:19]
	v_cndmask_b32_e64 v36, v27, v36, s[18:19]
	v_cmp_ge_i32_e64 s[22:23], v37, v9
	s_waitcnt lgkmcnt(0)
	v_cmp_gt_i32_e64 s[24:25], v30, v29
	v_cmp_lt_i32_e64 s[20:21], v36, v10
	s_or_b64 s[22:23], s[22:23], s[24:25]
	s_and_b64 s[20:21], s[20:21], s[22:23]
	s_xor_b64 s[22:23], s[20:21], -1
                                        ; implicit-def: $vgpr38
	s_and_saveexec_b64 s[24:25], s[22:23]
	s_xor_b64 s[22:23], exec, s[24:25]
	s_cbranch_execz .LBB11_116
; %bb.115:
	v_lshl_add_u32 v38, v37, 2, v7
	ds_read_b32 v38, v38 offset:4
.LBB11_116:
	s_or_saveexec_b64 s[22:23], s[22:23]
	v_mov_b32_e32 v39, v30
	s_xor_b64 exec, exec, s[22:23]
	s_cbranch_execz .LBB11_118
; %bb.117:
	s_waitcnt lgkmcnt(0)
	v_lshl_add_u32 v38, v36, 2, v7
	ds_read_b32 v39, v38 offset:4
	v_mov_b32_e32 v38, v29
.LBB11_118:
	s_or_b64 exec, exec, s[22:23]
	v_add_u32_e32 v42, 1, v37
	v_add_u32_e32 v40, 1, v36
	v_cndmask_b32_e64 v42, v42, v37, s[20:21]
	v_cndmask_b32_e64 v41, v36, v40, s[20:21]
	v_cmp_ge_i32_e64 s[24:25], v42, v9
	s_waitcnt lgkmcnt(0)
	v_cmp_gt_i32_e64 s[26:27], v39, v38
	v_cmp_lt_i32_e64 s[22:23], v41, v10
	s_or_b64 s[24:25], s[24:25], s[26:27]
	s_and_b64 s[22:23], s[22:23], s[24:25]
	s_xor_b64 s[24:25], s[22:23], -1
                                        ; implicit-def: $vgpr40
	s_and_saveexec_b64 s[26:27], s[24:25]
	s_xor_b64 s[24:25], exec, s[26:27]
	s_cbranch_execz .LBB11_120
; %bb.119:
	v_lshl_add_u32 v40, v42, 2, v7
	ds_read_b32 v40, v40 offset:4
.LBB11_120:
	s_or_saveexec_b64 s[24:25], s[24:25]
	v_mov_b32_e32 v43, v39
	s_xor_b64 exec, exec, s[24:25]
	s_cbranch_execz .LBB11_122
; %bb.121:
	s_waitcnt lgkmcnt(0)
	v_lshl_add_u32 v40, v41, 2, v7
	ds_read_b32 v43, v40 offset:4
	v_mov_b32_e32 v40, v38
.LBB11_122:
	s_or_b64 exec, exec, s[24:25]
	v_add_u32_e32 v44, 1, v42
	v_cndmask_b32_e64 v38, v38, v39, s[22:23]
	v_add_u32_e32 v39, 1, v41
	v_cndmask_b32_e64 v44, v44, v42, s[22:23]
	v_cndmask_b32_e64 v39, v41, v39, s[22:23]
	;; [unrolled: 1-line block ×6, first 2 shown]
	v_cmp_ge_i32_e64 s[14:15], v44, v9
	s_waitcnt lgkmcnt(0)
	v_cmp_gt_i32_e64 s[16:17], v43, v40
	v_cndmask_b32_e64 v12, v12, v14, s[12:13]
	v_cndmask_b32_e64 v11, v13, v11, s[12:13]
	v_cmp_lt_i32_e64 s[12:13], v39, v10
	s_or_b64 s[14:15], s[14:15], s[16:17]
	s_and_b64 s[12:13], s[12:13], s[14:15]
	v_cndmask_b32_e64 v41, v42, v41, s[22:23]
	v_cndmask_b32_e64 v29, v29, v30, s[20:21]
	v_cndmask_b32_e64 v30, v37, v36, s[20:21]
	v_cndmask_b32_e64 v25, v25, v26, s[18:19]
	v_cndmask_b32_e64 v26, v28, v27, s[18:19]
	v_cndmask_b32_e64 v10, v44, v39, s[12:13]
	v_cndmask_b32_e64 v9, v40, v43, s[12:13]
	; wave barrier
	ds_write2_b32 v8, v0, v1 offset1:1
	ds_write2_b32 v8, v2, v3 offset0:2 offset1:3
	ds_write2_b32 v8, v4, v5 offset0:4 offset1:5
	ds_write_b32 v8, v6 offset:24
	v_lshl_add_u32 v0, v11, 2, v7
	v_lshl_add_u32 v1, v17, 2, v7
	;; [unrolled: 1-line block ×7, first 2 shown]
	; wave barrier
	ds_read_b32 v0, v0
	ds_read_b32 v1, v1
	;; [unrolled: 1-line block ×7, first 2 shown]
	; wave barrier
	ds_write2_b32 v8, v12, v16 offset1:1
	ds_write2_b32 v8, v20, v25 offset0:2 offset1:3
	ds_write2_b32 v8, v29, v38 offset0:4 offset1:5
	ds_write_b32 v8, v9 offset:24
	v_and_b32_e32 v9, 24, v31
	v_mul_u32_u24_e32 v9, 7, v9
	v_min_i32_e32 v13, v15, v9
	v_and_b32_e32 v10, 7, v31
	v_add_u32_e32 v9, 28, v13
	v_mul_u32_u24_e32 v10, 7, v10
	v_min_i32_e32 v9, v15, v9
	v_min_i32_e32 v11, v15, v10
	v_add_u32_e32 v10, 28, v9
	v_min_i32_e32 v10, v15, v10
	v_sub_u32_e32 v16, v10, v9
	v_sub_u32_e32 v14, v9, v13
	;; [unrolled: 1-line block ×3, first 2 shown]
	v_cmp_ge_i32_e64 s[12:13], v11, v16
	v_cndmask_b32_e64 v16, 0, v17, s[12:13]
	v_min_i32_e32 v14, v11, v14
	v_lshl_add_u32 v12, v13, 2, v7
	v_cmp_lt_i32_e64 s[12:13], v16, v14
	; wave barrier
	s_and_saveexec_b64 s[14:15], s[12:13]
	s_cbranch_execz .LBB11_126
; %bb.123:
	v_lshlrev_b32_e32 v17, 2, v9
	v_lshlrev_b32_e32 v18, 2, v11
	v_add3_u32 v17, v7, v17, v18
	s_mov_b64 s[16:17], 0
.LBB11_124:                             ; =>This Inner Loop Header: Depth=1
	v_sub_u32_e32 v18, v14, v16
	v_lshrrev_b32_e32 v19, 31, v18
	v_add_u32_e32 v18, v18, v19
	v_ashrrev_i32_e32 v18, 1, v18
	v_add_u32_e32 v18, v18, v16
	v_not_b32_e32 v20, v18
	v_lshl_add_u32 v19, v18, 2, v12
	v_lshl_add_u32 v20, v20, 2, v17
	ds_read_b32 v19, v19
	ds_read_b32 v20, v20
	v_add_u32_e32 v21, 1, v18
	s_waitcnt lgkmcnt(0)
	v_cmp_gt_i32_e64 s[12:13], v20, v19
	v_cndmask_b32_e64 v14, v14, v18, s[12:13]
	v_cndmask_b32_e64 v16, v21, v16, s[12:13]
	v_cmp_ge_i32_e64 s[12:13], v16, v14
	s_or_b64 s[16:17], s[12:13], s[16:17]
	s_andn2_b64 exec, exec, s[16:17]
	s_cbranch_execnz .LBB11_124
; %bb.125:
	s_or_b64 exec, exec, s[16:17]
.LBB11_126:
	s_or_b64 exec, exec, s[14:15]
	v_add_u32_e32 v11, v9, v11
	v_sub_u32_e32 v11, v11, v16
	v_lshl_add_u32 v19, v16, 2, v12
	v_lshl_add_u32 v18, v11, 2, v7
	ds_read_b32 v12, v19
	ds_read_b32 v14, v18
	v_add_u32_e32 v13, v16, v13
	v_cmp_le_i32_e64 s[14:15], v9, v13
	v_cmp_gt_i32_e64 s[12:13], v10, v11
                                        ; implicit-def: $vgpr16
                                        ; implicit-def: $vgpr17
	s_waitcnt lgkmcnt(0)
	v_cmp_gt_i32_e64 s[16:17], v14, v12
	s_or_b64 s[14:15], s[14:15], s[16:17]
	s_and_b64 s[12:13], s[12:13], s[14:15]
	s_xor_b64 s[14:15], s[12:13], -1
	s_and_saveexec_b64 s[16:17], s[14:15]
	s_xor_b64 s[14:15], exec, s[16:17]
	s_cbranch_execz .LBB11_128
; %bb.127:
	ds_read_b32 v17, v19 offset:4
	v_mov_b32_e32 v16, v14
                                        ; implicit-def: $vgpr18
.LBB11_128:
	s_andn2_saveexec_b64 s[14:15], s[14:15]
	s_cbranch_execz .LBB11_130
; %bb.129:
	ds_read_b32 v16, v18 offset:4
	s_waitcnt lgkmcnt(1)
	v_mov_b32_e32 v17, v12
.LBB11_130:
	s_or_b64 exec, exec, s[14:15]
	v_add_u32_e32 v19, 1, v13
	v_add_u32_e32 v18, 1, v11
	v_cndmask_b32_e64 v19, v19, v13, s[12:13]
	v_cndmask_b32_e64 v18, v11, v18, s[12:13]
	v_cmp_ge_i32_e64 s[16:17], v19, v9
	s_waitcnt lgkmcnt(0)
	v_cmp_gt_i32_e64 s[18:19], v16, v17
	v_cmp_lt_i32_e64 s[14:15], v18, v10
	s_or_b64 s[16:17], s[16:17], s[18:19]
	s_and_b64 s[14:15], s[14:15], s[16:17]
	s_xor_b64 s[16:17], s[14:15], -1
                                        ; implicit-def: $vgpr20
	s_and_saveexec_b64 s[18:19], s[16:17]
	s_xor_b64 s[16:17], exec, s[18:19]
	s_cbranch_execz .LBB11_132
; %bb.131:
	v_lshl_add_u32 v20, v19, 2, v7
	ds_read_b32 v20, v20 offset:4
.LBB11_132:
	s_or_saveexec_b64 s[16:17], s[16:17]
	v_mov_b32_e32 v21, v16
	s_xor_b64 exec, exec, s[16:17]
	s_cbranch_execz .LBB11_134
; %bb.133:
	s_waitcnt lgkmcnt(0)
	v_lshl_add_u32 v20, v18, 2, v7
	ds_read_b32 v21, v20 offset:4
	v_mov_b32_e32 v20, v17
.LBB11_134:
	s_or_b64 exec, exec, s[16:17]
	v_add_u32_e32 v24, 1, v19
	v_add_u32_e32 v22, 1, v18
	v_cndmask_b32_e64 v24, v24, v19, s[14:15]
	v_cndmask_b32_e64 v22, v18, v22, s[14:15]
	v_cmp_ge_i32_e64 s[18:19], v24, v9
	s_waitcnt lgkmcnt(0)
	v_cmp_gt_i32_e64 s[20:21], v21, v20
	v_cmp_lt_i32_e64 s[16:17], v22, v10
	s_or_b64 s[18:19], s[18:19], s[20:21]
	s_and_b64 s[16:17], s[16:17], s[18:19]
	s_xor_b64 s[18:19], s[16:17], -1
                                        ; implicit-def: $vgpr25
	s_and_saveexec_b64 s[20:21], s[18:19]
	s_xor_b64 s[18:19], exec, s[20:21]
	s_cbranch_execz .LBB11_136
; %bb.135:
	v_lshl_add_u32 v25, v24, 2, v7
	ds_read_b32 v25, v25 offset:4
.LBB11_136:
	s_or_saveexec_b64 s[18:19], s[18:19]
	v_mov_b32_e32 v26, v21
	s_xor_b64 exec, exec, s[18:19]
	s_cbranch_execz .LBB11_138
; %bb.137:
	s_waitcnt lgkmcnt(0)
	v_lshl_add_u32 v25, v22, 2, v7
	ds_read_b32 v26, v25 offset:4
	v_mov_b32_e32 v25, v20
.LBB11_138:
	s_or_b64 exec, exec, s[18:19]
	v_add_u32_e32 v28, 1, v24
	v_add_u32_e32 v27, 1, v22
	v_cndmask_b32_e64 v28, v28, v24, s[16:17]
	v_cndmask_b32_e64 v27, v22, v27, s[16:17]
	v_cmp_ge_i32_e64 s[20:21], v28, v9
	s_waitcnt lgkmcnt(0)
	v_cmp_gt_i32_e64 s[22:23], v26, v25
	v_cmp_lt_i32_e64 s[18:19], v27, v10
	s_or_b64 s[20:21], s[20:21], s[22:23]
	s_and_b64 s[18:19], s[18:19], s[20:21]
	s_xor_b64 s[20:21], s[18:19], -1
                                        ; implicit-def: $vgpr29
	s_and_saveexec_b64 s[22:23], s[20:21]
	s_xor_b64 s[20:21], exec, s[22:23]
	s_cbranch_execz .LBB11_140
; %bb.139:
	v_lshl_add_u32 v29, v28, 2, v7
	ds_read_b32 v29, v29 offset:4
.LBB11_140:
	s_or_saveexec_b64 s[20:21], s[20:21]
	v_mov_b32_e32 v30, v26
	s_xor_b64 exec, exec, s[20:21]
	s_cbranch_execz .LBB11_142
; %bb.141:
	s_waitcnt lgkmcnt(0)
	v_lshl_add_u32 v29, v27, 2, v7
	ds_read_b32 v30, v29 offset:4
	v_mov_b32_e32 v29, v25
.LBB11_142:
	s_or_b64 exec, exec, s[20:21]
	v_add_u32_e32 v37, 1, v28
	v_add_u32_e32 v36, 1, v27
	v_cndmask_b32_e64 v37, v37, v28, s[18:19]
	v_cndmask_b32_e64 v36, v27, v36, s[18:19]
	v_cmp_ge_i32_e64 s[22:23], v37, v9
	s_waitcnt lgkmcnt(0)
	v_cmp_gt_i32_e64 s[24:25], v30, v29
	v_cmp_lt_i32_e64 s[20:21], v36, v10
	s_or_b64 s[22:23], s[22:23], s[24:25]
	s_and_b64 s[20:21], s[20:21], s[22:23]
	s_xor_b64 s[22:23], s[20:21], -1
                                        ; implicit-def: $vgpr38
	s_and_saveexec_b64 s[24:25], s[22:23]
	s_xor_b64 s[22:23], exec, s[24:25]
	s_cbranch_execz .LBB11_144
; %bb.143:
	v_lshl_add_u32 v38, v37, 2, v7
	ds_read_b32 v38, v38 offset:4
.LBB11_144:
	s_or_saveexec_b64 s[22:23], s[22:23]
	v_mov_b32_e32 v39, v30
	s_xor_b64 exec, exec, s[22:23]
	s_cbranch_execz .LBB11_146
; %bb.145:
	s_waitcnt lgkmcnt(0)
	v_lshl_add_u32 v38, v36, 2, v7
	ds_read_b32 v39, v38 offset:4
	v_mov_b32_e32 v38, v29
.LBB11_146:
	s_or_b64 exec, exec, s[22:23]
	v_add_u32_e32 v42, 1, v37
	v_add_u32_e32 v40, 1, v36
	v_cndmask_b32_e64 v42, v42, v37, s[20:21]
	v_cndmask_b32_e64 v41, v36, v40, s[20:21]
	v_cmp_ge_i32_e64 s[24:25], v42, v9
	s_waitcnt lgkmcnt(0)
	v_cmp_gt_i32_e64 s[26:27], v39, v38
	v_cmp_lt_i32_e64 s[22:23], v41, v10
	s_or_b64 s[24:25], s[24:25], s[26:27]
	s_and_b64 s[22:23], s[22:23], s[24:25]
	s_xor_b64 s[24:25], s[22:23], -1
                                        ; implicit-def: $vgpr40
	s_and_saveexec_b64 s[26:27], s[24:25]
	s_xor_b64 s[24:25], exec, s[26:27]
	s_cbranch_execz .LBB11_148
; %bb.147:
	v_lshl_add_u32 v40, v42, 2, v7
	ds_read_b32 v40, v40 offset:4
.LBB11_148:
	s_or_saveexec_b64 s[24:25], s[24:25]
	v_mov_b32_e32 v43, v39
	s_xor_b64 exec, exec, s[24:25]
	s_cbranch_execz .LBB11_150
; %bb.149:
	s_waitcnt lgkmcnt(0)
	v_lshl_add_u32 v40, v41, 2, v7
	ds_read_b32 v43, v40 offset:4
	v_mov_b32_e32 v40, v38
.LBB11_150:
	s_or_b64 exec, exec, s[24:25]
	v_add_u32_e32 v44, 1, v42
	v_cndmask_b32_e64 v38, v38, v39, s[22:23]
	v_add_u32_e32 v39, 1, v41
	v_cndmask_b32_e64 v44, v44, v42, s[22:23]
	v_cndmask_b32_e64 v39, v41, v39, s[22:23]
	;; [unrolled: 1-line block ×6, first 2 shown]
	v_cmp_ge_i32_e64 s[14:15], v44, v9
	s_waitcnt lgkmcnt(0)
	v_cmp_gt_i32_e64 s[16:17], v43, v40
	v_cndmask_b32_e64 v12, v12, v14, s[12:13]
	v_cndmask_b32_e64 v11, v13, v11, s[12:13]
	v_cmp_lt_i32_e64 s[12:13], v39, v10
	s_or_b64 s[14:15], s[14:15], s[16:17]
	s_and_b64 s[12:13], s[12:13], s[14:15]
	v_cndmask_b32_e64 v41, v42, v41, s[22:23]
	v_cndmask_b32_e64 v29, v29, v30, s[20:21]
	;; [unrolled: 1-line block ×7, first 2 shown]
	; wave barrier
	ds_write2_b32 v8, v0, v1 offset1:1
	ds_write2_b32 v8, v2, v3 offset0:2 offset1:3
	ds_write2_b32 v8, v4, v5 offset0:4 offset1:5
	ds_write_b32 v8, v6 offset:24
	v_lshl_add_u32 v0, v11, 2, v7
	v_lshl_add_u32 v1, v17, 2, v7
	;; [unrolled: 1-line block ×7, first 2 shown]
	; wave barrier
	ds_read_b32 v0, v0
	ds_read_b32 v1, v1
	;; [unrolled: 1-line block ×7, first 2 shown]
	; wave barrier
	ds_write2_b32 v8, v12, v16 offset1:1
	ds_write2_b32 v8, v20, v25 offset0:2 offset1:3
	ds_write2_b32 v8, v29, v38 offset0:4 offset1:5
	ds_write_b32 v8, v9 offset:24
	v_and_b32_e32 v9, 16, v31
	v_mul_u32_u24_e32 v9, 7, v9
	v_min_i32_e32 v13, v15, v9
	v_and_b32_e32 v10, 15, v31
	v_add_u32_e32 v9, 56, v13
	v_mul_u32_u24_e32 v10, 7, v10
	v_min_i32_e32 v9, v15, v9
	v_min_i32_e32 v11, v15, v10
	v_add_u32_e32 v10, 56, v9
	v_min_i32_e32 v10, v15, v10
	v_sub_u32_e32 v16, v10, v9
	v_sub_u32_e32 v14, v9, v13
	;; [unrolled: 1-line block ×3, first 2 shown]
	v_cmp_ge_i32_e64 s[12:13], v11, v16
	v_cndmask_b32_e64 v16, 0, v17, s[12:13]
	v_min_i32_e32 v14, v11, v14
	v_lshl_add_u32 v12, v13, 2, v7
	v_cmp_lt_i32_e64 s[12:13], v16, v14
	; wave barrier
	s_and_saveexec_b64 s[14:15], s[12:13]
	s_cbranch_execz .LBB11_154
; %bb.151:
	v_lshlrev_b32_e32 v17, 2, v9
	v_lshlrev_b32_e32 v18, 2, v11
	v_add3_u32 v17, v7, v17, v18
	s_mov_b64 s[16:17], 0
.LBB11_152:                             ; =>This Inner Loop Header: Depth=1
	v_sub_u32_e32 v18, v14, v16
	v_lshrrev_b32_e32 v19, 31, v18
	v_add_u32_e32 v18, v18, v19
	v_ashrrev_i32_e32 v18, 1, v18
	v_add_u32_e32 v18, v18, v16
	v_not_b32_e32 v20, v18
	v_lshl_add_u32 v19, v18, 2, v12
	v_lshl_add_u32 v20, v20, 2, v17
	ds_read_b32 v19, v19
	ds_read_b32 v20, v20
	v_add_u32_e32 v21, 1, v18
	s_waitcnt lgkmcnt(0)
	v_cmp_gt_i32_e64 s[12:13], v20, v19
	v_cndmask_b32_e64 v14, v14, v18, s[12:13]
	v_cndmask_b32_e64 v16, v21, v16, s[12:13]
	v_cmp_ge_i32_e64 s[12:13], v16, v14
	s_or_b64 s[16:17], s[12:13], s[16:17]
	s_andn2_b64 exec, exec, s[16:17]
	s_cbranch_execnz .LBB11_152
; %bb.153:
	s_or_b64 exec, exec, s[16:17]
.LBB11_154:
	s_or_b64 exec, exec, s[14:15]
	v_add_u32_e32 v11, v9, v11
	v_sub_u32_e32 v11, v11, v16
	v_lshl_add_u32 v19, v16, 2, v12
	v_lshl_add_u32 v18, v11, 2, v7
	ds_read_b32 v12, v19
	ds_read_b32 v14, v18
	v_add_u32_e32 v13, v16, v13
	v_cmp_le_i32_e64 s[14:15], v9, v13
	v_cmp_gt_i32_e64 s[12:13], v10, v11
                                        ; implicit-def: $vgpr16
                                        ; implicit-def: $vgpr17
	s_waitcnt lgkmcnt(0)
	v_cmp_gt_i32_e64 s[16:17], v14, v12
	s_or_b64 s[14:15], s[14:15], s[16:17]
	s_and_b64 s[12:13], s[12:13], s[14:15]
	s_xor_b64 s[14:15], s[12:13], -1
	s_and_saveexec_b64 s[16:17], s[14:15]
	s_xor_b64 s[14:15], exec, s[16:17]
	s_cbranch_execz .LBB11_156
; %bb.155:
	ds_read_b32 v17, v19 offset:4
	v_mov_b32_e32 v16, v14
                                        ; implicit-def: $vgpr18
.LBB11_156:
	s_andn2_saveexec_b64 s[14:15], s[14:15]
	s_cbranch_execz .LBB11_158
; %bb.157:
	ds_read_b32 v16, v18 offset:4
	s_waitcnt lgkmcnt(1)
	v_mov_b32_e32 v17, v12
.LBB11_158:
	s_or_b64 exec, exec, s[14:15]
	v_add_u32_e32 v19, 1, v13
	v_add_u32_e32 v18, 1, v11
	v_cndmask_b32_e64 v19, v19, v13, s[12:13]
	v_cndmask_b32_e64 v18, v11, v18, s[12:13]
	v_cmp_ge_i32_e64 s[16:17], v19, v9
	s_waitcnt lgkmcnt(0)
	v_cmp_gt_i32_e64 s[18:19], v16, v17
	v_cmp_lt_i32_e64 s[14:15], v18, v10
	s_or_b64 s[16:17], s[16:17], s[18:19]
	s_and_b64 s[14:15], s[14:15], s[16:17]
	s_xor_b64 s[16:17], s[14:15], -1
                                        ; implicit-def: $vgpr20
	s_and_saveexec_b64 s[18:19], s[16:17]
	s_xor_b64 s[16:17], exec, s[18:19]
	s_cbranch_execz .LBB11_160
; %bb.159:
	v_lshl_add_u32 v20, v19, 2, v7
	ds_read_b32 v20, v20 offset:4
.LBB11_160:
	s_or_saveexec_b64 s[16:17], s[16:17]
	v_mov_b32_e32 v21, v16
	s_xor_b64 exec, exec, s[16:17]
	s_cbranch_execz .LBB11_162
; %bb.161:
	s_waitcnt lgkmcnt(0)
	v_lshl_add_u32 v20, v18, 2, v7
	ds_read_b32 v21, v20 offset:4
	v_mov_b32_e32 v20, v17
.LBB11_162:
	s_or_b64 exec, exec, s[16:17]
	v_add_u32_e32 v24, 1, v19
	v_add_u32_e32 v22, 1, v18
	v_cndmask_b32_e64 v24, v24, v19, s[14:15]
	v_cndmask_b32_e64 v22, v18, v22, s[14:15]
	v_cmp_ge_i32_e64 s[18:19], v24, v9
	s_waitcnt lgkmcnt(0)
	v_cmp_gt_i32_e64 s[20:21], v21, v20
	v_cmp_lt_i32_e64 s[16:17], v22, v10
	s_or_b64 s[18:19], s[18:19], s[20:21]
	s_and_b64 s[16:17], s[16:17], s[18:19]
	s_xor_b64 s[18:19], s[16:17], -1
                                        ; implicit-def: $vgpr25
	s_and_saveexec_b64 s[20:21], s[18:19]
	s_xor_b64 s[18:19], exec, s[20:21]
	s_cbranch_execz .LBB11_164
; %bb.163:
	v_lshl_add_u32 v25, v24, 2, v7
	ds_read_b32 v25, v25 offset:4
.LBB11_164:
	s_or_saveexec_b64 s[18:19], s[18:19]
	v_mov_b32_e32 v26, v21
	s_xor_b64 exec, exec, s[18:19]
	s_cbranch_execz .LBB11_166
; %bb.165:
	s_waitcnt lgkmcnt(0)
	v_lshl_add_u32 v25, v22, 2, v7
	ds_read_b32 v26, v25 offset:4
	v_mov_b32_e32 v25, v20
.LBB11_166:
	s_or_b64 exec, exec, s[18:19]
	v_add_u32_e32 v28, 1, v24
	v_add_u32_e32 v27, 1, v22
	v_cndmask_b32_e64 v28, v28, v24, s[16:17]
	v_cndmask_b32_e64 v27, v22, v27, s[16:17]
	v_cmp_ge_i32_e64 s[20:21], v28, v9
	s_waitcnt lgkmcnt(0)
	v_cmp_gt_i32_e64 s[22:23], v26, v25
	v_cmp_lt_i32_e64 s[18:19], v27, v10
	s_or_b64 s[20:21], s[20:21], s[22:23]
	s_and_b64 s[18:19], s[18:19], s[20:21]
	s_xor_b64 s[20:21], s[18:19], -1
                                        ; implicit-def: $vgpr29
	s_and_saveexec_b64 s[22:23], s[20:21]
	s_xor_b64 s[20:21], exec, s[22:23]
	s_cbranch_execz .LBB11_168
; %bb.167:
	v_lshl_add_u32 v29, v28, 2, v7
	ds_read_b32 v29, v29 offset:4
.LBB11_168:
	s_or_saveexec_b64 s[20:21], s[20:21]
	v_mov_b32_e32 v30, v26
	s_xor_b64 exec, exec, s[20:21]
	s_cbranch_execz .LBB11_170
; %bb.169:
	s_waitcnt lgkmcnt(0)
	v_lshl_add_u32 v29, v27, 2, v7
	ds_read_b32 v30, v29 offset:4
	v_mov_b32_e32 v29, v25
.LBB11_170:
	s_or_b64 exec, exec, s[20:21]
	v_add_u32_e32 v36, 1, v28
	v_add_u32_e32 v31, 1, v27
	v_cndmask_b32_e64 v36, v36, v28, s[18:19]
	v_cndmask_b32_e64 v31, v27, v31, s[18:19]
	v_cmp_ge_i32_e64 s[22:23], v36, v9
	s_waitcnt lgkmcnt(0)
	v_cmp_gt_i32_e64 s[24:25], v30, v29
	v_cmp_lt_i32_e64 s[20:21], v31, v10
	s_or_b64 s[22:23], s[22:23], s[24:25]
	s_and_b64 s[20:21], s[20:21], s[22:23]
	s_xor_b64 s[22:23], s[20:21], -1
                                        ; implicit-def: $vgpr37
	s_and_saveexec_b64 s[24:25], s[22:23]
	s_xor_b64 s[22:23], exec, s[24:25]
	s_cbranch_execz .LBB11_172
; %bb.171:
	v_lshl_add_u32 v37, v36, 2, v7
	ds_read_b32 v37, v37 offset:4
.LBB11_172:
	s_or_saveexec_b64 s[22:23], s[22:23]
	v_mov_b32_e32 v38, v30
	s_xor_b64 exec, exec, s[22:23]
	s_cbranch_execz .LBB11_174
; %bb.173:
	s_waitcnt lgkmcnt(0)
	v_lshl_add_u32 v37, v31, 2, v7
	ds_read_b32 v38, v37 offset:4
	v_mov_b32_e32 v37, v29
.LBB11_174:
	s_or_b64 exec, exec, s[22:23]
	v_add_u32_e32 v41, 1, v36
	v_add_u32_e32 v39, 1, v31
	v_cndmask_b32_e64 v41, v41, v36, s[20:21]
	v_cndmask_b32_e64 v40, v31, v39, s[20:21]
	v_cmp_ge_i32_e64 s[24:25], v41, v9
	s_waitcnt lgkmcnt(0)
	v_cmp_gt_i32_e64 s[26:27], v38, v37
	v_cmp_lt_i32_e64 s[22:23], v40, v10
	s_or_b64 s[24:25], s[24:25], s[26:27]
	s_and_b64 s[22:23], s[22:23], s[24:25]
	s_xor_b64 s[24:25], s[22:23], -1
                                        ; implicit-def: $vgpr39
	s_and_saveexec_b64 s[26:27], s[24:25]
	s_xor_b64 s[24:25], exec, s[26:27]
	s_cbranch_execz .LBB11_176
; %bb.175:
	v_lshl_add_u32 v39, v41, 2, v7
	ds_read_b32 v39, v39 offset:4
.LBB11_176:
	s_or_saveexec_b64 s[24:25], s[24:25]
	v_mov_b32_e32 v42, v38
	s_xor_b64 exec, exec, s[24:25]
	s_cbranch_execz .LBB11_178
; %bb.177:
	s_waitcnt lgkmcnt(0)
	v_lshl_add_u32 v39, v40, 2, v7
	ds_read_b32 v42, v39 offset:4
	v_mov_b32_e32 v39, v37
.LBB11_178:
	s_or_b64 exec, exec, s[24:25]
	v_add_u32_e32 v43, 1, v41
	v_cndmask_b32_e64 v37, v37, v38, s[22:23]
	v_add_u32_e32 v38, 1, v40
	v_cndmask_b32_e64 v43, v43, v41, s[22:23]
	v_cndmask_b32_e64 v38, v40, v38, s[22:23]
	;; [unrolled: 1-line block ×6, first 2 shown]
	v_cmp_ge_i32_e64 s[14:15], v43, v9
	s_waitcnt lgkmcnt(0)
	v_cmp_gt_i32_e64 s[16:17], v42, v39
	v_cndmask_b32_e64 v12, v12, v14, s[12:13]
	v_cndmask_b32_e64 v11, v13, v11, s[12:13]
	v_cmp_lt_i32_e64 s[12:13], v38, v10
	s_or_b64 s[14:15], s[14:15], s[16:17]
	s_and_b64 s[12:13], s[12:13], s[14:15]
	v_cndmask_b32_e64 v40, v41, v40, s[22:23]
	v_cndmask_b32_e64 v29, v29, v30, s[20:21]
	;; [unrolled: 1-line block ×6, first 2 shown]
	; wave barrier
	ds_write2_b32 v8, v0, v1 offset1:1
	ds_write2_b32 v8, v2, v3 offset0:2 offset1:3
	ds_write2_b32 v8, v4, v5 offset0:4 offset1:5
	ds_write_b32 v8, v6 offset:24
	v_lshl_add_u32 v0, v11, 2, v7
	v_lshl_add_u32 v1, v17, 2, v7
	;; [unrolled: 1-line block ×7, first 2 shown]
	; wave barrier
	ds_read_b32 v0, v0
	ds_read_b32 v1, v1
	;; [unrolled: 1-line block ×7, first 2 shown]
	v_cndmask_b32_e64 v9, v39, v42, s[12:13]
	v_min_i32_e32 v13, 0, v15
	; wave barrier
	ds_write2_b32 v8, v12, v16 offset1:1
	ds_write2_b32 v8, v20, v25 offset0:2 offset1:3
	ds_write2_b32 v8, v29, v37 offset0:4 offset1:5
	ds_write_b32 v8, v9 offset:24
	v_add_u32_e32 v9, 0x70, v13
	v_min_i32_e32 v9, v15, v9
	v_add_u32_e32 v10, 0x70, v9
	v_min_i32_e32 v10, v15, v10
	v_min_i32_e32 v11, v15, v23
	v_sub_u32_e32 v14, v10, v9
	v_sub_u32_e32 v15, v9, v13
	;; [unrolled: 1-line block ×3, first 2 shown]
	v_cmp_ge_i32_e64 s[12:13], v11, v14
	v_cndmask_b32_e64 v14, 0, v16, s[12:13]
	v_min_i32_e32 v15, v11, v15
	v_lshl_add_u32 v12, v13, 2, v7
	v_cmp_lt_i32_e64 s[12:13], v14, v15
	; wave barrier
	s_and_saveexec_b64 s[14:15], s[12:13]
	s_cbranch_execz .LBB11_182
; %bb.179:
	v_lshlrev_b32_e32 v16, 2, v9
	v_lshlrev_b32_e32 v17, 2, v11
	v_add3_u32 v16, v7, v16, v17
	s_mov_b64 s[16:17], 0
.LBB11_180:                             ; =>This Inner Loop Header: Depth=1
	v_sub_u32_e32 v17, v15, v14
	v_lshrrev_b32_e32 v18, 31, v17
	v_add_u32_e32 v17, v17, v18
	v_ashrrev_i32_e32 v17, 1, v17
	v_add_u32_e32 v17, v17, v14
	v_not_b32_e32 v19, v17
	v_lshl_add_u32 v18, v17, 2, v12
	v_lshl_add_u32 v19, v19, 2, v16
	ds_read_b32 v18, v18
	ds_read_b32 v19, v19
	v_add_u32_e32 v20, 1, v17
	s_waitcnt lgkmcnt(0)
	v_cmp_gt_i32_e64 s[12:13], v19, v18
	v_cndmask_b32_e64 v15, v15, v17, s[12:13]
	v_cndmask_b32_e64 v14, v20, v14, s[12:13]
	v_cmp_ge_i32_e64 s[12:13], v14, v15
	s_or_b64 s[16:17], s[12:13], s[16:17]
	s_andn2_b64 exec, exec, s[16:17]
	s_cbranch_execnz .LBB11_180
; %bb.181:
	s_or_b64 exec, exec, s[16:17]
.LBB11_182:
	s_or_b64 exec, exec, s[14:15]
	v_add_u32_e32 v11, v9, v11
	v_sub_u32_e32 v15, v11, v14
	v_lshl_add_u32 v18, v14, 2, v12
	v_lshl_add_u32 v16, v15, 2, v7
	ds_read_b32 v11, v18
	ds_read_b32 v12, v16
	v_add_u32_e32 v17, v14, v13
	v_cmp_le_i32_e64 s[14:15], v9, v17
	v_cmp_gt_i32_e64 s[12:13], v10, v15
                                        ; implicit-def: $vgpr13
                                        ; implicit-def: $vgpr14
	s_waitcnt lgkmcnt(0)
	v_cmp_gt_i32_e64 s[16:17], v12, v11
	s_or_b64 s[14:15], s[14:15], s[16:17]
	s_and_b64 s[12:13], s[12:13], s[14:15]
	s_xor_b64 s[14:15], s[12:13], -1
	s_and_saveexec_b64 s[16:17], s[14:15]
	s_xor_b64 s[14:15], exec, s[16:17]
	s_cbranch_execz .LBB11_184
; %bb.183:
	ds_read_b32 v14, v18 offset:4
	v_mov_b32_e32 v13, v12
                                        ; implicit-def: $vgpr16
.LBB11_184:
	s_andn2_saveexec_b64 s[14:15], s[14:15]
	s_cbranch_execz .LBB11_186
; %bb.185:
	ds_read_b32 v13, v16 offset:4
	s_waitcnt lgkmcnt(1)
	v_mov_b32_e32 v14, v11
.LBB11_186:
	s_or_b64 exec, exec, s[14:15]
	v_add_u32_e32 v18, 1, v17
	v_add_u32_e32 v16, 1, v15
	v_cndmask_b32_e64 v22, v18, v17, s[12:13]
	v_cndmask_b32_e64 v21, v15, v16, s[12:13]
	v_cmp_ge_i32_e64 s[16:17], v22, v9
	s_waitcnt lgkmcnt(0)
	v_cmp_gt_i32_e64 s[18:19], v13, v14
	v_cmp_lt_i32_e64 s[14:15], v21, v10
	s_or_b64 s[16:17], s[16:17], s[18:19]
	s_and_b64 s[14:15], s[14:15], s[16:17]
	s_xor_b64 s[16:17], s[14:15], -1
                                        ; implicit-def: $vgpr16
	s_and_saveexec_b64 s[18:19], s[16:17]
	s_xor_b64 s[16:17], exec, s[18:19]
	s_cbranch_execz .LBB11_188
; %bb.187:
	v_lshl_add_u32 v16, v22, 2, v7
	ds_read_b32 v16, v16 offset:4
.LBB11_188:
	s_or_saveexec_b64 s[16:17], s[16:17]
	v_mov_b32_e32 v18, v13
	s_xor_b64 exec, exec, s[16:17]
	s_cbranch_execz .LBB11_190
; %bb.189:
	s_waitcnt lgkmcnt(0)
	v_lshl_add_u32 v16, v21, 2, v7
	ds_read_b32 v18, v16 offset:4
	v_mov_b32_e32 v16, v14
.LBB11_190:
	s_or_b64 exec, exec, s[16:17]
	v_add_u32_e32 v20, 1, v22
	v_add_u32_e32 v19, 1, v21
	v_cndmask_b32_e64 v26, v20, v22, s[14:15]
	v_cndmask_b32_e64 v25, v21, v19, s[14:15]
	v_cmp_ge_i32_e64 s[18:19], v26, v9
	s_waitcnt lgkmcnt(0)
	v_cmp_gt_i32_e64 s[20:21], v18, v16
	v_cmp_lt_i32_e64 s[16:17], v25, v10
	s_or_b64 s[18:19], s[18:19], s[20:21]
	s_and_b64 s[16:17], s[16:17], s[18:19]
	s_xor_b64 s[18:19], s[16:17], -1
                                        ; implicit-def: $vgpr19
	s_and_saveexec_b64 s[20:21], s[18:19]
	s_xor_b64 s[18:19], exec, s[20:21]
	s_cbranch_execz .LBB11_192
; %bb.191:
	v_lshl_add_u32 v19, v26, 2, v7
	ds_read_b32 v19, v19 offset:4
.LBB11_192:
	s_or_saveexec_b64 s[18:19], s[18:19]
	v_mov_b32_e32 v20, v18
	s_xor_b64 exec, exec, s[18:19]
	s_cbranch_execz .LBB11_194
; %bb.193:
	s_waitcnt lgkmcnt(0)
	v_lshl_add_u32 v19, v25, 2, v7
	ds_read_b32 v20, v19 offset:4
	v_mov_b32_e32 v19, v16
.LBB11_194:
	s_or_b64 exec, exec, s[18:19]
	v_add_u32_e32 v24, 1, v26
	v_add_u32_e32 v23, 1, v25
	v_cndmask_b32_e64 v31, v24, v26, s[16:17]
	v_cndmask_b32_e64 v29, v25, v23, s[16:17]
	v_cmp_ge_i32_e64 s[20:21], v31, v9
	s_waitcnt lgkmcnt(0)
	v_cmp_gt_i32_e64 s[22:23], v20, v19
	v_cmp_lt_i32_e64 s[18:19], v29, v10
	s_or_b64 s[20:21], s[20:21], s[22:23]
	s_and_b64 s[18:19], s[18:19], s[20:21]
	s_xor_b64 s[20:21], s[18:19], -1
                                        ; implicit-def: $vgpr23
	s_and_saveexec_b64 s[22:23], s[20:21]
	s_xor_b64 s[20:21], exec, s[22:23]
	s_cbranch_execz .LBB11_196
; %bb.195:
	v_lshl_add_u32 v23, v31, 2, v7
	ds_read_b32 v23, v23 offset:4
.LBB11_196:
	s_or_saveexec_b64 s[20:21], s[20:21]
	v_mov_b32_e32 v24, v20
	s_xor_b64 exec, exec, s[20:21]
	s_cbranch_execz .LBB11_198
; %bb.197:
	s_waitcnt lgkmcnt(0)
	v_lshl_add_u32 v23, v29, 2, v7
	ds_read_b32 v24, v23 offset:4
	v_mov_b32_e32 v23, v19
.LBB11_198:
	s_or_b64 exec, exec, s[20:21]
	v_add_u32_e32 v28, 1, v31
	v_add_u32_e32 v27, 1, v29
	v_cndmask_b32_e64 v38, v28, v31, s[18:19]
	v_cndmask_b32_e64 v37, v29, v27, s[18:19]
	v_cmp_ge_i32_e64 s[22:23], v38, v9
	s_waitcnt lgkmcnt(0)
	v_cmp_gt_i32_e64 s[24:25], v24, v23
	v_cmp_lt_i32_e64 s[20:21], v37, v10
	s_or_b64 s[22:23], s[22:23], s[24:25]
	s_and_b64 s[20:21], s[20:21], s[22:23]
	s_xor_b64 s[22:23], s[20:21], -1
                                        ; implicit-def: $vgpr27
	s_and_saveexec_b64 s[24:25], s[22:23]
	s_xor_b64 s[22:23], exec, s[24:25]
	s_cbranch_execz .LBB11_200
; %bb.199:
	v_lshl_add_u32 v27, v38, 2, v7
	ds_read_b32 v27, v27 offset:4
.LBB11_200:
	s_or_saveexec_b64 s[22:23], s[22:23]
	v_mov_b32_e32 v28, v24
	s_xor_b64 exec, exec, s[22:23]
	s_cbranch_execz .LBB11_202
; %bb.201:
	s_waitcnt lgkmcnt(0)
	v_lshl_add_u32 v27, v37, 2, v7
	ds_read_b32 v28, v27 offset:4
	v_mov_b32_e32 v27, v23
.LBB11_202:
	s_or_b64 exec, exec, s[22:23]
	v_add_u32_e32 v36, 1, v38
	v_add_u32_e32 v30, 1, v37
	v_cndmask_b32_e64 v42, v36, v38, s[20:21]
	v_cndmask_b32_e64 v39, v37, v30, s[20:21]
	v_cmp_ge_i32_e64 s[24:25], v42, v9
	s_waitcnt lgkmcnt(0)
	v_cmp_gt_i32_e64 s[26:27], v28, v27
	v_cmp_lt_i32_e64 s[22:23], v39, v10
	s_or_b64 s[24:25], s[24:25], s[26:27]
	s_and_b64 s[22:23], s[22:23], s[24:25]
	s_xor_b64 s[24:25], s[22:23], -1
                                        ; implicit-def: $vgpr30
                                        ; implicit-def: $vgpr41
	s_and_saveexec_b64 s[26:27], s[24:25]
	s_xor_b64 s[24:25], exec, s[26:27]
	s_cbranch_execz .LBB11_204
; %bb.203:
	v_lshl_add_u32 v30, v42, 2, v7
	ds_read_b32 v30, v30 offset:4
	v_add_u32_e32 v41, 1, v42
.LBB11_204:
	s_or_saveexec_b64 s[24:25], s[24:25]
	v_mov_b32_e32 v40, v42
	v_mov_b32_e32 v36, v28
	s_xor_b64 exec, exec, s[24:25]
	s_cbranch_execz .LBB11_206
; %bb.205:
	v_lshl_add_u32 v36, v39, 2, v7
	ds_read_b32 v36, v36 offset:4
	s_waitcnt lgkmcnt(1)
	v_add_u32_e32 v30, 1, v39
	v_mov_b32_e32 v40, v39
	v_mov_b32_e32 v41, v42
	;; [unrolled: 1-line block ×4, first 2 shown]
.LBB11_206:
	s_or_b64 exec, exec, s[24:25]
	v_cmp_ge_i32_e64 s[26:27], v41, v9
	s_waitcnt lgkmcnt(0)
	v_cmp_gt_i32_e64 s[28:29], v36, v30
	v_cmp_lt_i32_e64 s[24:25], v39, v10
	s_or_b64 s[26:27], s[26:27], s[28:29]
	v_cndmask_b32_e64 v29, v31, v29, s[18:19]
	v_cndmask_b32_e64 v25, v26, v25, s[16:17]
	;; [unrolled: 1-line block ×4, first 2 shown]
	s_and_b64 s[24:25], s[24:25], s[26:27]
	v_cndmask_b32_e64 v37, v38, v37, s[20:21]
	v_cndmask_b32_e64 v9, v41, v39, s[24:25]
	; wave barrier
	ds_write2_b32 v8, v0, v1 offset1:1
	ds_write2_b32 v8, v2, v3 offset0:2 offset1:3
	ds_write2_b32 v8, v4, v5 offset0:4 offset1:5
	ds_write_b32 v8, v6 offset:24
	v_lshl_add_u32 v0, v15, 2, v7
	v_lshl_add_u32 v1, v21, 2, v7
	;; [unrolled: 1-line block ×4, first 2 shown]
	; wave barrier
	v_lshl_add_u32 v8, v37, 2, v7
	v_lshl_add_u32 v10, v40, 2, v7
	;; [unrolled: 1-line block ×3, first 2 shown]
	ds_read_b32 v6, v0
	ds_read_b32 v5, v1
	;; [unrolled: 1-line block ×7, first 2 shown]
	s_and_saveexec_b64 s[26:27], vcc
	s_cbranch_execnz .LBB11_223
; %bb.207:
	s_or_b64 exec, exec, s[26:27]
	s_and_saveexec_b64 s[12:13], s[0:1]
	s_cbranch_execnz .LBB11_224
.LBB11_208:
	s_or_b64 exec, exec, s[12:13]
	s_and_saveexec_b64 s[12:13], s[2:3]
	s_cbranch_execnz .LBB11_225
.LBB11_209:
	s_or_b64 exec, exec, s[12:13]
	s_and_saveexec_b64 s[12:13], s[4:5]
	s_cbranch_execnz .LBB11_226
.LBB11_210:
	s_or_b64 exec, exec, s[12:13]
	s_and_saveexec_b64 s[12:13], s[6:7]
	s_cbranch_execnz .LBB11_227
.LBB11_211:
	s_or_b64 exec, exec, s[12:13]
	s_and_saveexec_b64 s[12:13], s[8:9]
	s_cbranch_execnz .LBB11_228
.LBB11_212:
	s_or_b64 exec, exec, s[12:13]
	s_and_saveexec_b64 s[12:13], s[10:11]
	s_cbranch_execnz .LBB11_229
.LBB11_213:
	s_or_b64 exec, exec, s[12:13]
	s_and_saveexec_b64 s[12:13], vcc
	s_cbranch_execnz .LBB11_230
.LBB11_214:
	s_or_b64 exec, exec, s[12:13]
	s_and_saveexec_b64 s[12:13], s[0:1]
	s_cbranch_execnz .LBB11_231
.LBB11_215:
	s_or_b64 exec, exec, s[12:13]
	s_and_saveexec_b64 s[0:1], s[2:3]
	s_cbranch_execnz .LBB11_232
.LBB11_216:
	s_or_b64 exec, exec, s[0:1]
	s_and_saveexec_b64 s[0:1], s[4:5]
	s_cbranch_execnz .LBB11_233
.LBB11_217:
	s_or_b64 exec, exec, s[0:1]
	s_and_saveexec_b64 s[0:1], s[6:7]
	s_cbranch_execnz .LBB11_234
.LBB11_218:
	s_or_b64 exec, exec, s[0:1]
	s_and_saveexec_b64 s[0:1], s[8:9]
	s_cbranch_execnz .LBB11_235
.LBB11_219:
	s_or_b64 exec, exec, s[0:1]
	s_and_saveexec_b64 s[0:1], s[10:11]
	s_cbranch_execnz .LBB11_236
.LBB11_220:
	s_endpgm
.LBB11_221:
	global_load_dword v41, v[34:35], off offset:16
	s_or_b64 exec, exec, s[12:13]
	s_and_saveexec_b64 s[12:13], s[8:9]
	s_cbranch_execz .LBB11_24
.LBB11_222:
	global_load_dword v40, v[34:35], off offset:20
	s_or_b64 exec, exec, s[12:13]
	v_mov_b32_e32 v37, 0
	s_and_saveexec_b64 s[12:13], s[10:11]
	s_cbranch_execnz .LBB11_25
	s_branch .LBB11_26
.LBB11_223:
	v_cndmask_b32_e64 v7, v11, v12, s[12:13]
	global_store_dword v[32:33], v7, off
	s_or_b64 exec, exec, s[26:27]
	s_and_saveexec_b64 s[12:13], s[0:1]
	s_cbranch_execz .LBB11_208
.LBB11_224:
	v_cndmask_b32_e64 v7, v14, v13, s[14:15]
	global_store_dword v[32:33], v7, off offset:4
	s_or_b64 exec, exec, s[12:13]
	s_and_saveexec_b64 s[12:13], s[2:3]
	s_cbranch_execz .LBB11_209
.LBB11_225:
	v_cndmask_b32_e64 v7, v16, v18, s[16:17]
	global_store_dword v[32:33], v7, off offset:8
	s_or_b64 exec, exec, s[12:13]
	s_and_saveexec_b64 s[12:13], s[4:5]
	s_cbranch_execz .LBB11_210
.LBB11_226:
	v_cndmask_b32_e64 v7, v19, v20, s[18:19]
	global_store_dword v[32:33], v7, off offset:12
	s_or_b64 exec, exec, s[12:13]
	s_and_saveexec_b64 s[12:13], s[6:7]
	s_cbranch_execz .LBB11_211
.LBB11_227:
	v_cndmask_b32_e64 v7, v23, v24, s[20:21]
	global_store_dword v[32:33], v7, off offset:16
	s_or_b64 exec, exec, s[12:13]
	s_and_saveexec_b64 s[12:13], s[8:9]
	s_cbranch_execz .LBB11_212
.LBB11_228:
	v_cndmask_b32_e64 v7, v27, v28, s[22:23]
	global_store_dword v[32:33], v7, off offset:20
	s_or_b64 exec, exec, s[12:13]
	s_and_saveexec_b64 s[12:13], s[10:11]
	s_cbranch_execz .LBB11_213
.LBB11_229:
	v_cndmask_b32_e64 v7, v30, v36, s[24:25]
	global_store_dword v[32:33], v7, off offset:24
	s_or_b64 exec, exec, s[12:13]
	s_and_saveexec_b64 s[12:13], vcc
	s_cbranch_execz .LBB11_214
.LBB11_230:
	s_waitcnt lgkmcnt(6)
	global_store_dword v[34:35], v6, off
	s_or_b64 exec, exec, s[12:13]
	s_and_saveexec_b64 s[12:13], s[0:1]
	s_cbranch_execz .LBB11_215
.LBB11_231:
	s_waitcnt lgkmcnt(5)
	global_store_dword v[34:35], v5, off offset:4
	s_or_b64 exec, exec, s[12:13]
	s_and_saveexec_b64 s[0:1], s[2:3]
	s_cbranch_execz .LBB11_216
.LBB11_232:
	s_waitcnt lgkmcnt(4)
	global_store_dword v[34:35], v4, off offset:8
	s_or_b64 exec, exec, s[0:1]
	s_and_saveexec_b64 s[0:1], s[4:5]
	s_cbranch_execz .LBB11_217
.LBB11_233:
	s_waitcnt lgkmcnt(3)
	global_store_dword v[34:35], v3, off offset:12
	s_or_b64 exec, exec, s[0:1]
	s_and_saveexec_b64 s[0:1], s[6:7]
	s_cbranch_execz .LBB11_218
.LBB11_234:
	s_waitcnt lgkmcnt(2)
	global_store_dword v[34:35], v2, off offset:16
	s_or_b64 exec, exec, s[0:1]
	s_and_saveexec_b64 s[0:1], s[8:9]
	s_cbranch_execz .LBB11_219
.LBB11_235:
	s_waitcnt lgkmcnt(1)
	global_store_dword v[34:35], v1, off offset:20
	s_or_b64 exec, exec, s[0:1]
	s_and_saveexec_b64 s[0:1], s[10:11]
	s_cbranch_execz .LBB11_220
.LBB11_236:
	s_waitcnt lgkmcnt(0)
	global_store_dword v[34:35], v0, off offset:24
	s_endpgm
	.section	.rodata,"a",@progbits
	.p2align	6, 0x0
	.amdhsa_kernel _Z26sort_keys_values_segmentedILj256ELj32ELj7ELb0EiN10test_utils16custom_test_typeIsEENS0_7greaterEEvPT3_PT4_PKjT5_
		.amdhsa_group_segment_fixed_size 7200
		.amdhsa_private_segment_fixed_size 0
		.amdhsa_kernarg_size 28
		.amdhsa_user_sgpr_count 6
		.amdhsa_user_sgpr_private_segment_buffer 1
		.amdhsa_user_sgpr_dispatch_ptr 0
		.amdhsa_user_sgpr_queue_ptr 0
		.amdhsa_user_sgpr_kernarg_segment_ptr 1
		.amdhsa_user_sgpr_dispatch_id 0
		.amdhsa_user_sgpr_flat_scratch_init 0
		.amdhsa_user_sgpr_kernarg_preload_length 0
		.amdhsa_user_sgpr_kernarg_preload_offset 0
		.amdhsa_user_sgpr_private_segment_size 0
		.amdhsa_uses_dynamic_stack 0
		.amdhsa_system_sgpr_private_segment_wavefront_offset 0
		.amdhsa_system_sgpr_workgroup_id_x 1
		.amdhsa_system_sgpr_workgroup_id_y 0
		.amdhsa_system_sgpr_workgroup_id_z 0
		.amdhsa_system_sgpr_workgroup_info 0
		.amdhsa_system_vgpr_workitem_id 0
		.amdhsa_next_free_vgpr 47
		.amdhsa_next_free_sgpr 30
		.amdhsa_accum_offset 48
		.amdhsa_reserve_vcc 1
		.amdhsa_reserve_flat_scratch 0
		.amdhsa_float_round_mode_32 0
		.amdhsa_float_round_mode_16_64 0
		.amdhsa_float_denorm_mode_32 3
		.amdhsa_float_denorm_mode_16_64 3
		.amdhsa_dx10_clamp 1
		.amdhsa_ieee_mode 1
		.amdhsa_fp16_overflow 0
		.amdhsa_tg_split 0
		.amdhsa_exception_fp_ieee_invalid_op 0
		.amdhsa_exception_fp_denorm_src 0
		.amdhsa_exception_fp_ieee_div_zero 0
		.amdhsa_exception_fp_ieee_overflow 0
		.amdhsa_exception_fp_ieee_underflow 0
		.amdhsa_exception_fp_ieee_inexact 0
		.amdhsa_exception_int_div_zero 0
	.end_amdhsa_kernel
	.section	.text._Z26sort_keys_values_segmentedILj256ELj32ELj7ELb0EiN10test_utils16custom_test_typeIsEENS0_7greaterEEvPT3_PT4_PKjT5_,"axG",@progbits,_Z26sort_keys_values_segmentedILj256ELj32ELj7ELb0EiN10test_utils16custom_test_typeIsEENS0_7greaterEEvPT3_PT4_PKjT5_,comdat
.Lfunc_end11:
	.size	_Z26sort_keys_values_segmentedILj256ELj32ELj7ELb0EiN10test_utils16custom_test_typeIsEENS0_7greaterEEvPT3_PT4_PKjT5_, .Lfunc_end11-_Z26sort_keys_values_segmentedILj256ELj32ELj7ELb0EiN10test_utils16custom_test_typeIsEENS0_7greaterEEvPT3_PT4_PKjT5_
                                        ; -- End function
	.section	.AMDGPU.csdata,"",@progbits
; Kernel info:
; codeLenInByte = 9396
; NumSgprs: 34
; NumVgprs: 47
; NumAgprs: 0
; TotalNumVgprs: 47
; ScratchSize: 0
; MemoryBound: 0
; FloatMode: 240
; IeeeMode: 1
; LDSByteSize: 7200 bytes/workgroup (compile time only)
; SGPRBlocks: 4
; VGPRBlocks: 5
; NumSGPRsForWavesPerEU: 34
; NumVGPRsForWavesPerEU: 47
; AccumOffset: 48
; Occupancy: 8
; WaveLimiterHint : 0
; COMPUTE_PGM_RSRC2:SCRATCH_EN: 0
; COMPUTE_PGM_RSRC2:USER_SGPR: 6
; COMPUTE_PGM_RSRC2:TRAP_HANDLER: 0
; COMPUTE_PGM_RSRC2:TGID_X_EN: 1
; COMPUTE_PGM_RSRC2:TGID_Y_EN: 0
; COMPUTE_PGM_RSRC2:TGID_Z_EN: 0
; COMPUTE_PGM_RSRC2:TIDIG_COMP_CNT: 0
; COMPUTE_PGM_RSRC3_GFX90A:ACCUM_OFFSET: 11
; COMPUTE_PGM_RSRC3_GFX90A:TG_SPLIT: 0
	.section	.text._Z26sort_keys_values_segmentedILj256ELj8ELj4ELb1ExsN10test_utils4lessEEvPT3_PT4_PKjT5_,"axG",@progbits,_Z26sort_keys_values_segmentedILj256ELj8ELj4ELb1ExsN10test_utils4lessEEvPT3_PT4_PKjT5_,comdat
	.protected	_Z26sort_keys_values_segmentedILj256ELj8ELj4ELb1ExsN10test_utils4lessEEvPT3_PT4_PKjT5_ ; -- Begin function _Z26sort_keys_values_segmentedILj256ELj8ELj4ELb1ExsN10test_utils4lessEEvPT3_PT4_PKjT5_
	.globl	_Z26sort_keys_values_segmentedILj256ELj8ELj4ELb1ExsN10test_utils4lessEEvPT3_PT4_PKjT5_
	.p2align	8
	.type	_Z26sort_keys_values_segmentedILj256ELj8ELj4ELb1ExsN10test_utils4lessEEvPT3_PT4_PKjT5_,@function
_Z26sort_keys_values_segmentedILj256ELj8ELj4ELb1ExsN10test_utils4lessEEvPT3_PT4_PKjT5_: ; @_Z26sort_keys_values_segmentedILj256ELj8ELj4ELb1ExsN10test_utils4lessEEvPT3_PT4_PKjT5_
; %bb.0:
	s_load_dwordx2 s[0:1], s[4:5], 0x10
	v_lshrrev_b32_e32 v16, 3, v0
	v_lshl_or_b32 v2, s6, 5, v16
	v_mov_b32_e32 v3, 0
	v_lshlrev_b64 v[0:1], 2, v[2:3]
	s_waitcnt lgkmcnt(0)
	v_mov_b32_e32 v4, s1
	v_add_co_u32_e32 v0, vcc, s0, v0
	v_addc_co_u32_e32 v1, vcc, v4, v1, vcc
	global_load_dword v22, v[0:1], off
	s_load_dwordx4 s[4:7], s[4:5], 0x0
	v_mbcnt_lo_u32_b32 v0, -1, 0
	v_mbcnt_hi_u32_b32 v4, -1, v0
	v_lshlrev_b32_e32 v2, 5, v2
	v_lshlrev_b64 v[0:1], 3, v[2:3]
	v_lshlrev_b32_e32 v25, 2, v4
	s_waitcnt lgkmcnt(0)
	v_mov_b32_e32 v5, s5
	v_add_co_u32_e32 v0, vcc, s4, v0
	v_and_b32_e32 v23, 28, v25
	v_addc_co_u32_e32 v1, vcc, v5, v1, vcc
	v_lshlrev_b32_e32 v17, 3, v23
	v_add_co_u32_e32 v0, vcc, v0, v17
	v_addc_co_u32_e32 v1, vcc, 0, v1, vcc
                                        ; implicit-def: $vgpr6_vgpr7
	s_waitcnt vmcnt(0)
	v_cmp_lt_u32_e32 vcc, v23, v22
	s_and_saveexec_b64 s[0:1], vcc
	s_cbranch_execz .LBB12_2
; %bb.1:
	global_load_dwordx2 v[6:7], v[0:1], off
.LBB12_2:
	s_or_b64 exec, exec, s[0:1]
	v_or_b32_e32 v14, 1, v23
	v_cmp_lt_u32_e64 s[0:1], v14, v22
                                        ; implicit-def: $vgpr8_vgpr9
	s_and_saveexec_b64 s[2:3], s[0:1]
	s_cbranch_execz .LBB12_4
; %bb.3:
	global_load_dwordx2 v[8:9], v[0:1], off offset:8
.LBB12_4:
	s_or_b64 exec, exec, s[2:3]
	v_or_b32_e32 v18, 2, v23
	v_cmp_lt_u32_e64 s[2:3], v18, v22
                                        ; implicit-def: $vgpr10_vgpr11
	s_and_saveexec_b64 s[4:5], s[2:3]
	s_cbranch_execz .LBB12_6
; %bb.5:
	global_load_dwordx2 v[10:11], v[0:1], off offset:16
.LBB12_6:
	s_or_b64 exec, exec, s[4:5]
	v_or_b32_e32 v19, 3, v23
	v_cmp_lt_u32_e64 s[4:5], v19, v22
                                        ; implicit-def: $vgpr12_vgpr13
	s_and_saveexec_b64 s[8:9], s[4:5]
	s_cbranch_execz .LBB12_8
; %bb.7:
	global_load_dwordx2 v[12:13], v[0:1], off offset:24
.LBB12_8:
	s_or_b64 exec, exec, s[8:9]
	v_lshlrev_b64 v[2:3], 1, v[2:3]
	v_mov_b32_e32 v4, s7
	v_add_co_u32_e64 v2, s[6:7], s6, v2
	v_addc_co_u32_e64 v3, s[6:7], v4, v3, s[6:7]
	v_lshlrev_b32_e32 v4, 1, v23
	v_add_co_u32_e64 v2, s[6:7], v2, v4
	v_addc_co_u32_e64 v3, s[6:7], 0, v3, s[6:7]
                                        ; implicit-def: $vgpr4_vgpr5
	s_and_saveexec_b64 s[6:7], vcc
	s_cbranch_execnz .LBB12_74
; %bb.9:
	s_or_b64 exec, exec, s[6:7]
	s_and_saveexec_b64 s[6:7], s[0:1]
	s_cbranch_execnz .LBB12_75
.LBB12_10:
	s_or_b64 exec, exec, s[6:7]
	s_and_saveexec_b64 s[6:7], s[2:3]
	s_cbranch_execnz .LBB12_76
.LBB12_11:
	s_or_b64 exec, exec, s[6:7]
	s_and_saveexec_b64 s[6:7], s[4:5]
	s_cbranch_execz .LBB12_13
.LBB12_12:
	global_load_ushort v15, v[2:3], off offset:6
	s_mov_b32 s8, 0x5040100
	s_waitcnt vmcnt(0)
	v_perm_b32 v5, v15, v5, s8
.LBB12_13:
	s_or_b64 exec, exec, s[6:7]
	v_bfrev_b32_e32 v20, -2
	v_cmp_lt_i32_e64 s[6:7], v14, v22
	s_waitcnt vmcnt(0)
	v_cndmask_b32_e64 v15, v20, v9, s[6:7]
	v_cndmask_b32_e64 v14, -1, v8, s[6:7]
	v_cmp_lt_i32_e64 s[6:7], v18, v22
	v_cndmask_b32_e64 v9, v20, v11, s[6:7]
	v_cndmask_b32_e64 v8, -1, v10, s[6:7]
	v_cmp_lt_i32_e64 s[6:7], v19, v22
	v_cndmask_b32_e64 v11, v20, v13, s[6:7]
	v_cndmask_b32_e64 v10, -1, v12, s[6:7]
	v_cmp_lt_i32_e64 s[6:7], v23, v22
	s_and_saveexec_b64 s[8:9], s[6:7]
	s_cbranch_execz .LBB12_17
; %bb.14:
	v_cmp_gt_i64_e64 s[6:7], v[14:15], v[6:7]
	v_alignbit_b32 v20, v4, v4, 16
	v_cndmask_b32_e64 v19, v7, v15, s[6:7]
	v_cndmask_b32_e64 v18, v6, v14, s[6:7]
	v_cmp_lt_i64_e64 s[6:7], v[14:15], v[6:7]
	v_cndmask_b32_e64 v13, v7, v15, s[6:7]
	v_cndmask_b32_e64 v12, v6, v14, s[6:7]
	;; [unrolled: 1-line block ×3, first 2 shown]
	v_cmp_gt_i64_e64 s[6:7], v[10:11], v[8:9]
	v_cndmask_b32_e64 v15, v9, v11, s[6:7]
	v_cndmask_b32_e64 v14, v8, v10, s[6:7]
	v_cmp_lt_i64_e64 s[6:7], v[10:11], v[8:9]
	v_alignbit_b32 v20, v5, v5, 16
	v_cndmask_b32_e64 v7, v9, v11, s[6:7]
	v_cndmask_b32_e64 v6, v8, v10, s[6:7]
	;; [unrolled: 1-line block ×3, first 2 shown]
	s_mov_b32 s12, 0x5040100
	v_cmp_gt_i64_e64 s[6:7], v[6:7], v[18:19]
	v_perm_b32 v10, v5, v4, s12
	s_mov_b32 s13, 0x7060302
	v_cndmask_b32_e64 v9, v19, v7, s[6:7]
	v_cndmask_b32_e64 v8, v18, v6, s[6:7]
	v_cmp_lt_i64_e64 s[6:7], v[6:7], v[18:19]
	v_perm_b32 v11, v5, v4, s13
	v_cndmask_b32_e64 v4, v4, v10, s[6:7]
	v_cndmask_b32_e64 v5, v5, v11, s[6:7]
	;; [unrolled: 1-line block ×4, first 2 shown]
	v_alignbit_b32 v20, v4, v4, 16
	v_cmp_lt_i64_e64 s[6:7], v[6:7], v[12:13]
	v_cndmask_b32_e64 v7, v13, v11, s[6:7]
	v_cndmask_b32_e64 v6, v12, v10, s[6:7]
	;; [unrolled: 1-line block ×5, first 2 shown]
	v_cmp_gt_i64_e64 s[6:7], v[14:15], v[8:9]
	v_cndmask_b32_e64 v11, v9, v15, s[6:7]
	v_cndmask_b32_e64 v10, v8, v14, s[6:7]
	v_cmp_lt_i64_e64 s[6:7], v[14:15], v[8:9]
	v_alignbit_b32 v20, v5, v5, 16
	v_cndmask_b32_e64 v9, v9, v15, s[6:7]
	v_cndmask_b32_e64 v8, v8, v14, s[6:7]
	v_cmp_gt_i64_e64 s[6:7], v[18:19], v[14:15]
	v_cndmask_b32_e64 v5, v5, v20, s[6:7]
	v_cmp_lt_i64_e64 s[6:7], v[8:9], v[12:13]
	v_pk_mov_b32 v[14:15], v[12:13], v[12:13] op_sel:[0,1]
	s_and_saveexec_b64 s[10:11], s[6:7]
; %bb.15:
	v_perm_b32 v15, v5, v4, s13
	v_perm_b32 v14, v5, v4, s12
	v_pk_mov_b32 v[4:5], v[14:15], v[14:15] op_sel:[0,1]
	v_pk_mov_b32 v[14:15], v[8:9], v[8:9] op_sel:[0,1]
	;; [unrolled: 1-line block ×3, first 2 shown]
; %bb.16:
	s_or_b64 exec, exec, s[10:11]
.LBB12_17:
	s_or_b64 exec, exec, s[8:9]
	s_movk_i32 s6, 0x108
	v_mad_u32_u24 v26, v16, s6, v17
	; wave barrier
	ds_write2_b64 v26, v[6:7], v[14:15] offset1:1
	ds_write2_b64 v26, v[8:9], v[10:11] offset0:2 offset1:3
	v_and_b32_e32 v7, 24, v25
	v_min_i32_e32 v10, v22, v7
	v_add_u32_e32 v7, 4, v10
	v_min_i32_e32 v27, v22, v7
	v_add_u32_e32 v7, 4, v27
	v_and_b32_e32 v6, 4, v25
	v_min_i32_e32 v28, v22, v7
	v_min_i32_e32 v6, v22, v6
	v_sub_u32_e32 v9, v28, v27
	v_lshlrev_b32_e32 v7, 3, v10
	v_sub_u32_e32 v8, v27, v10
	v_mad_u32_u24 v7, v16, s6, v7
	v_sub_u32_e32 v11, v6, v9
	v_cmp_ge_i32_e64 s[6:7], v6, v9
	v_cndmask_b32_e64 v11, 0, v11, s[6:7]
	v_min_i32_e32 v8, v6, v8
	v_mul_u32_u24_e32 v24, 0x108, v16
	v_cmp_lt_i32_e64 s[6:7], v11, v8
	; wave barrier
	s_and_saveexec_b64 s[8:9], s[6:7]
	s_cbranch_execz .LBB12_21
; %bb.18:
	v_lshlrev_b32_e32 v9, 3, v27
	v_lshlrev_b32_e32 v12, 3, v6
	v_add3_u32 v9, v24, v9, v12
	s_mov_b64 s[10:11], 0
.LBB12_19:                              ; =>This Inner Loop Header: Depth=1
	v_sub_u32_e32 v12, v8, v11
	v_lshrrev_b32_e32 v13, 31, v12
	v_add_u32_e32 v12, v12, v13
	v_ashrrev_i32_e32 v12, 1, v12
	v_add_u32_e32 v16, v12, v11
	v_not_b32_e32 v13, v16
	v_lshl_add_u32 v12, v16, 3, v7
	v_lshl_add_u32 v14, v13, 3, v9
	ds_read_b64 v[12:13], v12
	ds_read_b64 v[14:15], v14
	v_add_u32_e32 v17, 1, v16
	s_waitcnt lgkmcnt(0)
	v_cmp_lt_i64_e64 s[6:7], v[14:15], v[12:13]
	v_cndmask_b32_e64 v8, v8, v16, s[6:7]
	v_cndmask_b32_e64 v11, v17, v11, s[6:7]
	v_cmp_ge_i32_e64 s[6:7], v11, v8
	s_or_b64 s[10:11], s[6:7], s[10:11]
	s_andn2_b64 exec, exec, s[10:11]
	s_cbranch_execnz .LBB12_19
; %bb.20:
	s_or_b64 exec, exec, s[10:11]
.LBB12_21:
	s_or_b64 exec, exec, s[8:9]
	v_add_u32_e32 v6, v27, v6
	v_sub_u32_e32 v29, v6, v11
	v_lshl_add_u32 v12, v11, 3, v7
	v_lshl_add_u32 v14, v29, 3, v24
	ds_read_b64 v[6:7], v12
	ds_read_b64 v[8:9], v14
	v_add_u32_e32 v30, v11, v10
	v_cmp_le_i32_e64 s[8:9], v27, v30
	v_cmp_gt_i32_e64 s[6:7], v28, v29
                                        ; implicit-def: $vgpr10_vgpr11
	s_waitcnt lgkmcnt(0)
	v_cmp_lt_i64_e64 s[10:11], v[8:9], v[6:7]
	s_or_b64 s[8:9], s[8:9], s[10:11]
	s_and_b64 s[6:7], s[6:7], s[8:9]
	s_xor_b64 s[8:9], s[6:7], -1
	s_and_saveexec_b64 s[10:11], s[8:9]
	s_xor_b64 s[8:9], exec, s[10:11]
	s_cbranch_execz .LBB12_23
; %bb.22:
	ds_read_b64 v[10:11], v12 offset:8
                                        ; implicit-def: $vgpr14
.LBB12_23:
	s_or_saveexec_b64 s[8:9], s[8:9]
	v_pk_mov_b32 v[12:13], v[8:9], v[8:9] op_sel:[0,1]
	s_xor_b64 exec, exec, s[8:9]
	s_cbranch_execz .LBB12_25
; %bb.24:
	ds_read_b64 v[12:13], v14 offset:8
	s_waitcnt lgkmcnt(1)
	v_pk_mov_b32 v[10:11], v[6:7], v[6:7] op_sel:[0,1]
.LBB12_25:
	s_or_b64 exec, exec, s[8:9]
	v_add_u32_e32 v15, 1, v30
	v_add_u32_e32 v14, 1, v29
	v_cndmask_b32_e64 v32, v15, v30, s[6:7]
	v_cndmask_b32_e64 v31, v29, v14, s[6:7]
	v_cmp_ge_i32_e64 s[10:11], v32, v27
	s_waitcnt lgkmcnt(0)
	v_cmp_lt_i64_e64 s[12:13], v[12:13], v[10:11]
	v_cmp_lt_i32_e64 s[8:9], v31, v28
	s_or_b64 s[10:11], s[10:11], s[12:13]
	s_and_b64 s[8:9], s[8:9], s[10:11]
	s_xor_b64 s[10:11], s[8:9], -1
                                        ; implicit-def: $vgpr14_vgpr15
	s_and_saveexec_b64 s[12:13], s[10:11]
	s_xor_b64 s[10:11], exec, s[12:13]
	s_cbranch_execz .LBB12_27
; %bb.26:
	v_lshl_add_u32 v14, v32, 3, v24
	ds_read_b64 v[14:15], v14 offset:8
.LBB12_27:
	s_or_saveexec_b64 s[10:11], s[10:11]
	v_pk_mov_b32 v[16:17], v[12:13], v[12:13] op_sel:[0,1]
	s_xor_b64 exec, exec, s[10:11]
	s_cbranch_execz .LBB12_29
; %bb.28:
	s_waitcnt lgkmcnt(0)
	v_lshl_add_u32 v14, v31, 3, v24
	ds_read_b64 v[16:17], v14 offset:8
	v_pk_mov_b32 v[14:15], v[10:11], v[10:11] op_sel:[0,1]
.LBB12_29:
	s_or_b64 exec, exec, s[10:11]
	v_add_u32_e32 v19, 1, v32
	v_add_u32_e32 v18, 1, v31
	v_cndmask_b32_e64 v34, v19, v32, s[8:9]
	v_cndmask_b32_e64 v33, v31, v18, s[8:9]
	v_cmp_ge_i32_e64 s[12:13], v34, v27
	s_waitcnt lgkmcnt(0)
	v_cmp_lt_i64_e64 s[14:15], v[16:17], v[14:15]
	v_cmp_lt_i32_e64 s[10:11], v33, v28
	s_or_b64 s[12:13], s[12:13], s[14:15]
	s_and_b64 s[10:11], s[10:11], s[12:13]
	s_xor_b64 s[12:13], s[10:11], -1
                                        ; implicit-def: $vgpr18_vgpr19
	s_and_saveexec_b64 s[14:15], s[12:13]
	s_xor_b64 s[12:13], exec, s[14:15]
	s_cbranch_execz .LBB12_31
; %bb.30:
	v_lshl_add_u32 v18, v34, 3, v24
	ds_read_b64 v[18:19], v18 offset:8
.LBB12_31:
	s_or_saveexec_b64 s[12:13], s[12:13]
	v_pk_mov_b32 v[20:21], v[16:17], v[16:17] op_sel:[0,1]
	s_xor_b64 exec, exec, s[12:13]
	s_cbranch_execz .LBB12_33
; %bb.32:
	s_waitcnt lgkmcnt(0)
	v_lshl_add_u32 v18, v33, 3, v24
	ds_read_b64 v[20:21], v18 offset:8
	v_pk_mov_b32 v[18:19], v[14:15], v[14:15] op_sel:[0,1]
.LBB12_33:
	s_or_b64 exec, exec, s[12:13]
	v_cndmask_b32_e64 v15, v15, v17, s[10:11]
	v_add_u32_e32 v17, 1, v34
	v_cndmask_b32_e64 v14, v14, v16, s[10:11]
	v_add_u32_e32 v16, 1, v33
	v_cndmask_b32_e64 v17, v17, v34, s[10:11]
	v_cndmask_b32_e64 v16, v33, v16, s[10:11]
	;; [unrolled: 1-line block ×6, first 2 shown]
	v_cmp_ge_i32_e64 s[8:9], v17, v27
	s_waitcnt lgkmcnt(0)
	v_cmp_lt_i64_e64 s[10:11], v[20:21], v[18:19]
	v_cndmask_b32_e64 v7, v7, v9, s[6:7]
	v_cndmask_b32_e64 v6, v6, v8, s[6:7]
	v_cndmask_b32_e64 v13, v30, v29, s[6:7]
	v_cmp_lt_i32_e64 s[6:7], v16, v28
	s_or_b64 s[8:9], s[8:9], s[10:11]
	s_and_b64 s[6:7], s[6:7], s[8:9]
	v_cndmask_b32_e64 v16, v17, v16, s[6:7]
	v_mad_i32_i24 v17, v23, -6, v26
	; wave barrier
	ds_write_b64 v17, v[4:5]
	v_lshl_add_u32 v4, v13, 1, v24
	v_lshl_add_u32 v5, v12, 1, v24
	v_cndmask_b32_e64 v9, v19, v21, s[6:7]
	v_cndmask_b32_e64 v8, v18, v20, s[6:7]
	; wave barrier
	v_lshl_add_u32 v12, v33, 1, v24
	v_lshl_add_u32 v13, v16, 1, v24
	ds_read_u16 v21, v4
	ds_read_u16 v27, v5
	;; [unrolled: 1-line block ×4, first 2 shown]
	v_and_b32_e32 v5, 16, v25
	; wave barrier
	ds_write2_b64 v26, v[6:7], v[10:11] offset1:1
	ds_write2_b64 v26, v[14:15], v[8:9] offset0:2 offset1:3
	v_min_i32_e32 v8, v22, v5
	v_add_u32_e32 v5, 8, v8
	v_min_i32_e32 v20, v22, v5
	v_add_u32_e32 v5, 8, v20
	v_and_b32_e32 v4, 12, v25
	v_min_i32_e32 v25, v22, v5
	v_min_i32_e32 v4, v22, v4
	v_sub_u32_e32 v7, v25, v20
	v_sub_u32_e32 v6, v20, v8
	;; [unrolled: 1-line block ×3, first 2 shown]
	v_cmp_ge_i32_e64 s[6:7], v4, v7
	v_cndmask_b32_e64 v9, 0, v9, s[6:7]
	v_min_i32_e32 v6, v4, v6
	v_lshl_add_u32 v5, v8, 3, v24
	v_cmp_lt_i32_e64 s[6:7], v9, v6
	; wave barrier
	s_and_saveexec_b64 s[8:9], s[6:7]
	s_cbranch_execz .LBB12_37
; %bb.34:
	v_lshlrev_b32_e32 v7, 3, v20
	v_lshlrev_b32_e32 v10, 3, v4
	v_add3_u32 v7, v24, v7, v10
	s_mov_b64 s[10:11], 0
.LBB12_35:                              ; =>This Inner Loop Header: Depth=1
	v_sub_u32_e32 v10, v6, v9
	v_lshrrev_b32_e32 v11, 31, v10
	v_add_u32_e32 v10, v10, v11
	v_ashrrev_i32_e32 v10, 1, v10
	v_add_u32_e32 v14, v10, v9
	v_not_b32_e32 v11, v14
	v_lshl_add_u32 v10, v14, 3, v5
	v_lshl_add_u32 v12, v11, 3, v7
	ds_read_b64 v[10:11], v10
	ds_read_b64 v[12:13], v12
	v_add_u32_e32 v15, 1, v14
	s_waitcnt lgkmcnt(0)
	v_cmp_lt_i64_e64 s[6:7], v[12:13], v[10:11]
	v_cndmask_b32_e64 v6, v6, v14, s[6:7]
	v_cndmask_b32_e64 v9, v15, v9, s[6:7]
	v_cmp_ge_i32_e64 s[6:7], v9, v6
	s_or_b64 s[10:11], s[6:7], s[10:11]
	s_andn2_b64 exec, exec, s[10:11]
	s_cbranch_execnz .LBB12_35
; %bb.36:
	s_or_b64 exec, exec, s[10:11]
.LBB12_37:
	s_or_b64 exec, exec, s[8:9]
	v_add_u32_e32 v4, v20, v4
	v_sub_u32_e32 v31, v4, v9
	v_lshl_add_u32 v10, v9, 3, v5
	v_lshl_add_u32 v12, v31, 3, v24
	ds_read_b64 v[4:5], v10
	ds_read_b64 v[6:7], v12
	v_add_u32_e32 v32, v9, v8
	v_cmp_le_i32_e64 s[8:9], v20, v32
	v_cmp_gt_i32_e64 s[6:7], v25, v31
	v_mul_i32_i24_e32 v30, -6, v23
	s_waitcnt lgkmcnt(0)
	v_cmp_lt_i64_e64 s[10:11], v[6:7], v[4:5]
	s_or_b64 s[8:9], s[8:9], s[10:11]
	s_and_b64 s[6:7], s[6:7], s[8:9]
	s_xor_b64 s[8:9], s[6:7], -1
                                        ; implicit-def: $vgpr8_vgpr9
	s_and_saveexec_b64 s[10:11], s[8:9]
	s_xor_b64 s[8:9], exec, s[10:11]
	s_cbranch_execz .LBB12_39
; %bb.38:
	ds_read_b64 v[8:9], v10 offset:8
                                        ; implicit-def: $vgpr12
.LBB12_39:
	s_or_saveexec_b64 s[8:9], s[8:9]
	v_pk_mov_b32 v[10:11], v[6:7], v[6:7] op_sel:[0,1]
	s_xor_b64 exec, exec, s[8:9]
	s_cbranch_execz .LBB12_41
; %bb.40:
	ds_read_b64 v[10:11], v12 offset:8
	s_waitcnt lgkmcnt(1)
	v_pk_mov_b32 v[8:9], v[4:5], v[4:5] op_sel:[0,1]
.LBB12_41:
	s_or_b64 exec, exec, s[8:9]
	v_add_u32_e32 v13, 1, v32
	v_add_u32_e32 v12, 1, v31
	v_cndmask_b32_e64 v34, v13, v32, s[6:7]
	v_cndmask_b32_e64 v33, v31, v12, s[6:7]
	v_cmp_ge_i32_e64 s[10:11], v34, v20
	s_waitcnt lgkmcnt(0)
	v_cmp_lt_i64_e64 s[12:13], v[10:11], v[8:9]
	v_cmp_lt_i32_e64 s[8:9], v33, v25
	s_or_b64 s[10:11], s[10:11], s[12:13]
	s_and_b64 s[8:9], s[8:9], s[10:11]
	s_xor_b64 s[10:11], s[8:9], -1
                                        ; implicit-def: $vgpr12_vgpr13
	s_and_saveexec_b64 s[12:13], s[10:11]
	s_xor_b64 s[10:11], exec, s[12:13]
	s_cbranch_execz .LBB12_43
; %bb.42:
	v_lshl_add_u32 v12, v34, 3, v24
	ds_read_b64 v[12:13], v12 offset:8
.LBB12_43:
	s_or_saveexec_b64 s[10:11], s[10:11]
	v_pk_mov_b32 v[14:15], v[10:11], v[10:11] op_sel:[0,1]
	s_xor_b64 exec, exec, s[10:11]
	s_cbranch_execz .LBB12_45
; %bb.44:
	s_waitcnt lgkmcnt(0)
	v_lshl_add_u32 v12, v33, 3, v24
	ds_read_b64 v[14:15], v12 offset:8
	v_pk_mov_b32 v[12:13], v[8:9], v[8:9] op_sel:[0,1]
.LBB12_45:
	s_or_b64 exec, exec, s[10:11]
	v_add_u32_e32 v17, 1, v34
	v_add_u32_e32 v16, 1, v33
	v_cndmask_b32_e64 v36, v17, v34, s[8:9]
	v_cndmask_b32_e64 v35, v33, v16, s[8:9]
	v_cmp_ge_i32_e64 s[12:13], v36, v20
	s_waitcnt lgkmcnt(0)
	v_cmp_lt_i64_e64 s[14:15], v[14:15], v[12:13]
	v_cmp_lt_i32_e64 s[10:11], v35, v25
	s_or_b64 s[12:13], s[12:13], s[14:15]
	s_and_b64 s[10:11], s[10:11], s[12:13]
	s_xor_b64 s[12:13], s[10:11], -1
                                        ; implicit-def: $vgpr16_vgpr17
	s_and_saveexec_b64 s[14:15], s[12:13]
	s_xor_b64 s[12:13], exec, s[14:15]
	s_cbranch_execz .LBB12_47
; %bb.46:
	v_lshl_add_u32 v16, v36, 3, v24
	ds_read_b64 v[16:17], v16 offset:8
.LBB12_47:
	s_or_saveexec_b64 s[12:13], s[12:13]
	v_pk_mov_b32 v[18:19], v[14:15], v[14:15] op_sel:[0,1]
	s_xor_b64 exec, exec, s[12:13]
	s_cbranch_execz .LBB12_49
; %bb.48:
	s_waitcnt lgkmcnt(0)
	v_lshl_add_u32 v16, v35, 3, v24
	ds_read_b64 v[18:19], v16 offset:8
	v_pk_mov_b32 v[16:17], v[12:13], v[12:13] op_sel:[0,1]
.LBB12_49:
	s_or_b64 exec, exec, s[12:13]
	v_cndmask_b32_e64 v13, v13, v15, s[10:11]
	v_add_u32_e32 v15, 1, v36
	v_cndmask_b32_e64 v12, v12, v14, s[10:11]
	v_add_u32_e32 v14, 1, v35
	v_cndmask_b32_e64 v15, v15, v36, s[10:11]
	v_cndmask_b32_e64 v14, v35, v14, s[10:11]
	;; [unrolled: 1-line block ×6, first 2 shown]
	v_cmp_ge_i32_e64 s[8:9], v15, v20
	s_waitcnt lgkmcnt(0)
	v_cmp_lt_i64_e64 s[10:11], v[18:19], v[16:17]
	v_cndmask_b32_e64 v5, v5, v7, s[6:7]
	v_cndmask_b32_e64 v4, v4, v6, s[6:7]
	;; [unrolled: 1-line block ×3, first 2 shown]
	v_cmp_lt_i32_e64 s[6:7], v14, v25
	s_or_b64 s[8:9], s[8:9], s[10:11]
	s_and_b64 s[6:7], s[6:7], s[8:9]
	v_cndmask_b32_e64 v7, v17, v19, s[6:7]
	v_cndmask_b32_e64 v6, v16, v18, s[6:7]
	;; [unrolled: 1-line block ×3, first 2 shown]
	s_mov_b32 s6, 0x5040100
	v_add_u32_e32 v20, v26, v30
	v_perm_b32 v11, v29, v28, s6
	v_perm_b32 v10, v27, v21, s6
	; wave barrier
	ds_write_b64 v20, v[10:11]
	v_lshl_add_u32 v10, v31, 1, v24
	; wave barrier
	v_lshl_add_u32 v11, v33, 1, v24
	v_lshl_add_u32 v15, v35, 1, v24
	;; [unrolled: 1-line block ×3, first 2 shown]
	ds_read_u16 v21, v10
	ds_read_u16 v25, v11
	;; [unrolled: 1-line block ×4, first 2 shown]
	; wave barrier
	ds_write2_b64 v26, v[4:5], v[8:9] offset1:1
	ds_write2_b64 v26, v[12:13], v[6:7] offset0:2 offset1:3
	v_min_i32_e32 v8, 0, v22
	v_add_u32_e32 v5, 16, v8
	v_min_i32_e32 v4, v22, v23
	v_min_i32_e32 v23, v22, v5
	v_add_u32_e32 v5, 16, v23
	v_min_i32_e32 v22, v22, v5
	v_sub_u32_e32 v7, v22, v23
	v_sub_u32_e32 v6, v23, v8
	;; [unrolled: 1-line block ×3, first 2 shown]
	v_cmp_ge_i32_e64 s[6:7], v4, v7
	v_cndmask_b32_e64 v9, 0, v9, s[6:7]
	v_min_i32_e32 v6, v4, v6
	v_lshl_add_u32 v5, v8, 3, v24
	v_cmp_lt_i32_e64 s[6:7], v9, v6
	; wave barrier
	s_and_saveexec_b64 s[8:9], s[6:7]
	s_cbranch_execz .LBB12_53
; %bb.50:
	v_lshlrev_b32_e32 v7, 3, v23
	v_lshlrev_b32_e32 v10, 3, v4
	v_add3_u32 v7, v24, v7, v10
	s_mov_b64 s[10:11], 0
.LBB12_51:                              ; =>This Inner Loop Header: Depth=1
	v_sub_u32_e32 v10, v6, v9
	v_lshrrev_b32_e32 v11, 31, v10
	v_add_u32_e32 v10, v10, v11
	v_ashrrev_i32_e32 v10, 1, v10
	v_add_u32_e32 v14, v10, v9
	v_not_b32_e32 v11, v14
	v_lshl_add_u32 v10, v14, 3, v5
	v_lshl_add_u32 v12, v11, 3, v7
	ds_read_b64 v[10:11], v10
	ds_read_b64 v[12:13], v12
	v_add_u32_e32 v15, 1, v14
	s_waitcnt lgkmcnt(0)
	v_cmp_lt_i64_e64 s[6:7], v[12:13], v[10:11]
	v_cndmask_b32_e64 v6, v6, v14, s[6:7]
	v_cndmask_b32_e64 v9, v15, v9, s[6:7]
	v_cmp_ge_i32_e64 s[6:7], v9, v6
	s_or_b64 s[10:11], s[6:7], s[10:11]
	s_andn2_b64 exec, exec, s[10:11]
	s_cbranch_execnz .LBB12_51
; %bb.52:
	s_or_b64 exec, exec, s[10:11]
.LBB12_53:
	s_or_b64 exec, exec, s[8:9]
	v_add_u32_e32 v4, v23, v4
	v_sub_u32_e32 v26, v4, v9
	v_lshl_add_u32 v10, v9, 3, v5
	v_lshl_add_u32 v12, v26, 3, v24
	ds_read_b64 v[4:5], v10
	ds_read_b64 v[6:7], v12
	v_add_u32_e32 v29, v9, v8
	v_cmp_le_i32_e64 s[8:9], v23, v29
	v_cmp_gt_i32_e64 s[6:7], v22, v26
                                        ; implicit-def: $vgpr8_vgpr9
	s_waitcnt lgkmcnt(0)
	v_cmp_lt_i64_e64 s[10:11], v[6:7], v[4:5]
	s_or_b64 s[8:9], s[8:9], s[10:11]
	s_and_b64 s[6:7], s[6:7], s[8:9]
	s_xor_b64 s[8:9], s[6:7], -1
	s_and_saveexec_b64 s[10:11], s[8:9]
	s_xor_b64 s[8:9], exec, s[10:11]
	s_cbranch_execz .LBB12_55
; %bb.54:
	ds_read_b64 v[8:9], v10 offset:8
                                        ; implicit-def: $vgpr12
.LBB12_55:
	s_or_saveexec_b64 s[8:9], s[8:9]
	v_pk_mov_b32 v[10:11], v[6:7], v[6:7] op_sel:[0,1]
	s_xor_b64 exec, exec, s[8:9]
	s_cbranch_execz .LBB12_57
; %bb.56:
	ds_read_b64 v[10:11], v12 offset:8
	s_waitcnt lgkmcnt(1)
	v_pk_mov_b32 v[8:9], v[4:5], v[4:5] op_sel:[0,1]
.LBB12_57:
	s_or_b64 exec, exec, s[8:9]
	v_add_u32_e32 v13, 1, v29
	v_add_u32_e32 v12, 1, v26
	v_cndmask_b32_e64 v31, v13, v29, s[6:7]
	v_cndmask_b32_e64 v30, v26, v12, s[6:7]
	v_cmp_ge_i32_e64 s[10:11], v31, v23
	s_waitcnt lgkmcnt(0)
	v_cmp_lt_i64_e64 s[12:13], v[10:11], v[8:9]
	v_cmp_lt_i32_e64 s[8:9], v30, v22
	s_or_b64 s[10:11], s[10:11], s[12:13]
	s_and_b64 s[8:9], s[8:9], s[10:11]
	s_xor_b64 s[10:11], s[8:9], -1
                                        ; implicit-def: $vgpr12_vgpr13
	s_and_saveexec_b64 s[12:13], s[10:11]
	s_xor_b64 s[10:11], exec, s[12:13]
	s_cbranch_execz .LBB12_59
; %bb.58:
	v_lshl_add_u32 v12, v31, 3, v24
	ds_read_b64 v[12:13], v12 offset:8
.LBB12_59:
	s_or_saveexec_b64 s[10:11], s[10:11]
	v_pk_mov_b32 v[14:15], v[10:11], v[10:11] op_sel:[0,1]
	s_xor_b64 exec, exec, s[10:11]
	s_cbranch_execz .LBB12_61
; %bb.60:
	s_waitcnt lgkmcnt(0)
	v_lshl_add_u32 v12, v30, 3, v24
	ds_read_b64 v[14:15], v12 offset:8
	v_pk_mov_b32 v[12:13], v[8:9], v[8:9] op_sel:[0,1]
.LBB12_61:
	s_or_b64 exec, exec, s[10:11]
	v_add_u32_e32 v17, 1, v31
	v_add_u32_e32 v16, 1, v30
	v_cndmask_b32_e64 v33, v17, v31, s[8:9]
	v_cndmask_b32_e64 v32, v30, v16, s[8:9]
	v_cmp_ge_i32_e64 s[12:13], v33, v23
	s_waitcnt lgkmcnt(0)
	v_cmp_lt_i64_e64 s[14:15], v[14:15], v[12:13]
	v_cmp_lt_i32_e64 s[10:11], v32, v22
	s_or_b64 s[12:13], s[12:13], s[14:15]
	s_and_b64 s[10:11], s[10:11], s[12:13]
	s_xor_b64 s[12:13], s[10:11], -1
                                        ; implicit-def: $vgpr16_vgpr17
                                        ; implicit-def: $vgpr34
	s_and_saveexec_b64 s[14:15], s[12:13]
	s_xor_b64 s[12:13], exec, s[14:15]
	s_cbranch_execz .LBB12_63
; %bb.62:
	v_lshl_add_u32 v16, v33, 3, v24
	ds_read_b64 v[16:17], v16 offset:8
	v_add_u32_e32 v34, 1, v33
.LBB12_63:
	s_or_saveexec_b64 s[12:13], s[12:13]
	v_mov_b32_e32 v35, v33
	v_pk_mov_b32 v[18:19], v[14:15], v[14:15] op_sel:[0,1]
	s_xor_b64 exec, exec, s[12:13]
	s_cbranch_execz .LBB12_65
; %bb.64:
	s_waitcnt lgkmcnt(0)
	v_lshl_add_u32 v17, v32, 3, v24
	ds_read_b64 v[18:19], v17 offset:8
	v_add_u32_e32 v16, 1, v32
	v_mov_b32_e32 v35, v32
	v_mov_b32_e32 v34, v33
	;; [unrolled: 1-line block ×3, first 2 shown]
	v_pk_mov_b32 v[16:17], v[12:13], v[12:13] op_sel:[0,1]
.LBB12_65:
	s_or_b64 exec, exec, s[12:13]
	v_cmp_ge_i32_e64 s[14:15], v34, v23
	s_waitcnt lgkmcnt(0)
	v_cmp_lt_i64_e64 s[16:17], v[18:19], v[16:17]
	v_cmp_lt_i32_e64 s[12:13], v32, v22
	s_or_b64 s[14:15], s[14:15], s[16:17]
	s_and_b64 s[12:13], s[12:13], s[14:15]
	s_mov_b32 s14, 0x5040100
	v_cndmask_b32_e64 v30, v31, v30, s[8:9]
	v_cndmask_b32_e64 v26, v29, v26, s[6:7]
	v_perm_b32 v23, v28, v27, s14
	v_perm_b32 v22, v25, v21, s14
	v_cndmask_b32_e64 v29, v34, v32, s[12:13]
	; wave barrier
	ds_write_b64 v20, v[22:23]
	v_lshl_add_u32 v20, v26, 1, v24
	v_lshl_add_u32 v21, v30, 1, v24
	; wave barrier
	v_lshl_add_u32 v25, v35, 1, v24
	v_lshl_add_u32 v24, v29, 1, v24
	ds_read_u16 v23, v20
	ds_read_u16 v22, v21
	;; [unrolled: 1-line block ×4, first 2 shown]
	s_and_saveexec_b64 s[14:15], vcc
	s_cbranch_execnz .LBB12_77
; %bb.66:
	s_or_b64 exec, exec, s[14:15]
	s_and_saveexec_b64 s[6:7], s[0:1]
	s_cbranch_execnz .LBB12_78
.LBB12_67:
	s_or_b64 exec, exec, s[6:7]
	s_and_saveexec_b64 s[6:7], s[2:3]
	s_cbranch_execnz .LBB12_79
.LBB12_68:
	s_or_b64 exec, exec, s[6:7]
	s_and_saveexec_b64 s[6:7], s[4:5]
	s_cbranch_execnz .LBB12_80
.LBB12_69:
	s_or_b64 exec, exec, s[6:7]
	s_and_saveexec_b64 s[6:7], vcc
	s_cbranch_execnz .LBB12_81
.LBB12_70:
	s_or_b64 exec, exec, s[6:7]
	s_and_saveexec_b64 s[6:7], s[0:1]
	s_cbranch_execnz .LBB12_82
.LBB12_71:
	s_or_b64 exec, exec, s[6:7]
	s_and_saveexec_b64 s[0:1], s[2:3]
	s_cbranch_execnz .LBB12_83
.LBB12_72:
	s_or_b64 exec, exec, s[0:1]
	s_and_saveexec_b64 s[0:1], s[4:5]
	s_cbranch_execnz .LBB12_84
.LBB12_73:
	s_endpgm
.LBB12_74:
	global_load_ushort v4, v[2:3], off
	s_or_b64 exec, exec, s[6:7]
	s_and_saveexec_b64 s[6:7], s[0:1]
	s_cbranch_execz .LBB12_10
.LBB12_75:
	global_load_ushort v15, v[2:3], off offset:2
	s_mov_b32 s8, 0x5040100
	s_waitcnt vmcnt(0)
	v_perm_b32 v4, v15, v4, s8
	s_or_b64 exec, exec, s[6:7]
	s_and_saveexec_b64 s[6:7], s[2:3]
	s_cbranch_execz .LBB12_11
.LBB12_76:
	global_load_ushort v15, v[2:3], off offset:4
	s_mov_b32 s8, 0xffff
	s_waitcnt vmcnt(0)
	v_bfi_b32 v5, s8, v15, v5
	s_or_b64 exec, exec, s[6:7]
	s_and_saveexec_b64 s[6:7], s[4:5]
	s_cbranch_execnz .LBB12_12
	s_branch .LBB12_13
.LBB12_77:
	v_cndmask_b32_e64 v5, v5, v7, s[6:7]
	v_cndmask_b32_e64 v4, v4, v6, s[6:7]
	global_store_dwordx2 v[0:1], v[4:5], off
	s_or_b64 exec, exec, s[14:15]
	s_and_saveexec_b64 s[6:7], s[0:1]
	s_cbranch_execz .LBB12_67
.LBB12_78:
	v_cndmask_b32_e64 v5, v9, v11, s[8:9]
	v_cndmask_b32_e64 v4, v8, v10, s[8:9]
	global_store_dwordx2 v[0:1], v[4:5], off offset:8
	s_or_b64 exec, exec, s[6:7]
	s_and_saveexec_b64 s[6:7], s[2:3]
	s_cbranch_execz .LBB12_68
.LBB12_79:
	v_cndmask_b32_e64 v5, v13, v15, s[10:11]
	v_cndmask_b32_e64 v4, v12, v14, s[10:11]
	global_store_dwordx2 v[0:1], v[4:5], off offset:16
	s_or_b64 exec, exec, s[6:7]
	s_and_saveexec_b64 s[6:7], s[4:5]
	s_cbranch_execz .LBB12_69
.LBB12_80:
	v_cndmask_b32_e64 v5, v17, v19, s[12:13]
	v_cndmask_b32_e64 v4, v16, v18, s[12:13]
	global_store_dwordx2 v[0:1], v[4:5], off offset:24
	s_or_b64 exec, exec, s[6:7]
	s_and_saveexec_b64 s[6:7], vcc
	s_cbranch_execz .LBB12_70
.LBB12_81:
	s_waitcnt lgkmcnt(3)
	global_store_short v[2:3], v23, off
	s_or_b64 exec, exec, s[6:7]
	s_and_saveexec_b64 s[6:7], s[0:1]
	s_cbranch_execz .LBB12_71
.LBB12_82:
	s_waitcnt lgkmcnt(2)
	global_store_short v[2:3], v22, off offset:2
	s_or_b64 exec, exec, s[6:7]
	s_and_saveexec_b64 s[0:1], s[2:3]
	s_cbranch_execz .LBB12_72
.LBB12_83:
	s_waitcnt lgkmcnt(1)
	global_store_short v[2:3], v21, off offset:4
	s_or_b64 exec, exec, s[0:1]
	s_and_saveexec_b64 s[0:1], s[4:5]
	s_cbranch_execz .LBB12_73
.LBB12_84:
	s_waitcnt lgkmcnt(0)
	global_store_short v[2:3], v20, off offset:6
	s_endpgm
	.section	.rodata,"a",@progbits
	.p2align	6, 0x0
	.amdhsa_kernel _Z26sort_keys_values_segmentedILj256ELj8ELj4ELb1ExsN10test_utils4lessEEvPT3_PT4_PKjT5_
		.amdhsa_group_segment_fixed_size 8448
		.amdhsa_private_segment_fixed_size 0
		.amdhsa_kernarg_size 28
		.amdhsa_user_sgpr_count 6
		.amdhsa_user_sgpr_private_segment_buffer 1
		.amdhsa_user_sgpr_dispatch_ptr 0
		.amdhsa_user_sgpr_queue_ptr 0
		.amdhsa_user_sgpr_kernarg_segment_ptr 1
		.amdhsa_user_sgpr_dispatch_id 0
		.amdhsa_user_sgpr_flat_scratch_init 0
		.amdhsa_user_sgpr_kernarg_preload_length 0
		.amdhsa_user_sgpr_kernarg_preload_offset 0
		.amdhsa_user_sgpr_private_segment_size 0
		.amdhsa_uses_dynamic_stack 0
		.amdhsa_system_sgpr_private_segment_wavefront_offset 0
		.amdhsa_system_sgpr_workgroup_id_x 1
		.amdhsa_system_sgpr_workgroup_id_y 0
		.amdhsa_system_sgpr_workgroup_id_z 0
		.amdhsa_system_sgpr_workgroup_info 0
		.amdhsa_system_vgpr_workitem_id 0
		.amdhsa_next_free_vgpr 37
		.amdhsa_next_free_sgpr 18
		.amdhsa_accum_offset 40
		.amdhsa_reserve_vcc 1
		.amdhsa_reserve_flat_scratch 0
		.amdhsa_float_round_mode_32 0
		.amdhsa_float_round_mode_16_64 0
		.amdhsa_float_denorm_mode_32 3
		.amdhsa_float_denorm_mode_16_64 3
		.amdhsa_dx10_clamp 1
		.amdhsa_ieee_mode 1
		.amdhsa_fp16_overflow 0
		.amdhsa_tg_split 0
		.amdhsa_exception_fp_ieee_invalid_op 0
		.amdhsa_exception_fp_denorm_src 0
		.amdhsa_exception_fp_ieee_div_zero 0
		.amdhsa_exception_fp_ieee_overflow 0
		.amdhsa_exception_fp_ieee_underflow 0
		.amdhsa_exception_fp_ieee_inexact 0
		.amdhsa_exception_int_div_zero 0
	.end_amdhsa_kernel
	.section	.text._Z26sort_keys_values_segmentedILj256ELj8ELj4ELb1ExsN10test_utils4lessEEvPT3_PT4_PKjT5_,"axG",@progbits,_Z26sort_keys_values_segmentedILj256ELj8ELj4ELb1ExsN10test_utils4lessEEvPT3_PT4_PKjT5_,comdat
.Lfunc_end12:
	.size	_Z26sort_keys_values_segmentedILj256ELj8ELj4ELb1ExsN10test_utils4lessEEvPT3_PT4_PKjT5_, .Lfunc_end12-_Z26sort_keys_values_segmentedILj256ELj8ELj4ELb1ExsN10test_utils4lessEEvPT3_PT4_PKjT5_
                                        ; -- End function
	.section	.AMDGPU.csdata,"",@progbits
; Kernel info:
; codeLenInByte = 4044
; NumSgprs: 22
; NumVgprs: 37
; NumAgprs: 0
; TotalNumVgprs: 37
; ScratchSize: 0
; MemoryBound: 0
; FloatMode: 240
; IeeeMode: 1
; LDSByteSize: 8448 bytes/workgroup (compile time only)
; SGPRBlocks: 2
; VGPRBlocks: 4
; NumSGPRsForWavesPerEU: 22
; NumVGPRsForWavesPerEU: 37
; AccumOffset: 40
; Occupancy: 7
; WaveLimiterHint : 0
; COMPUTE_PGM_RSRC2:SCRATCH_EN: 0
; COMPUTE_PGM_RSRC2:USER_SGPR: 6
; COMPUTE_PGM_RSRC2:TRAP_HANDLER: 0
; COMPUTE_PGM_RSRC2:TGID_X_EN: 1
; COMPUTE_PGM_RSRC2:TGID_Y_EN: 0
; COMPUTE_PGM_RSRC2:TGID_Z_EN: 0
; COMPUTE_PGM_RSRC2:TIDIG_COMP_CNT: 0
; COMPUTE_PGM_RSRC3_GFX90A:ACCUM_OFFSET: 9
; COMPUTE_PGM_RSRC3_GFX90A:TG_SPLIT: 0
	.section	.text._Z26sort_keys_values_segmentedILj256ELj32ELj8ELb0EN10test_utils16custom_test_typeIfEEiNS0_4lessEEvPT3_PT4_PKjT5_,"axG",@progbits,_Z26sort_keys_values_segmentedILj256ELj32ELj8ELb0EN10test_utils16custom_test_typeIfEEiNS0_4lessEEvPT3_PT4_PKjT5_,comdat
	.protected	_Z26sort_keys_values_segmentedILj256ELj32ELj8ELb0EN10test_utils16custom_test_typeIfEEiNS0_4lessEEvPT3_PT4_PKjT5_ ; -- Begin function _Z26sort_keys_values_segmentedILj256ELj32ELj8ELb0EN10test_utils16custom_test_typeIfEEiNS0_4lessEEvPT3_PT4_PKjT5_
	.globl	_Z26sort_keys_values_segmentedILj256ELj32ELj8ELb0EN10test_utils16custom_test_typeIfEEiNS0_4lessEEvPT3_PT4_PKjT5_
	.p2align	8
	.type	_Z26sort_keys_values_segmentedILj256ELj32ELj8ELb0EN10test_utils16custom_test_typeIfEEiNS0_4lessEEvPT3_PT4_PKjT5_,@function
_Z26sort_keys_values_segmentedILj256ELj32ELj8ELb0EN10test_utils16custom_test_typeIfEEiNS0_4lessEEvPT3_PT4_PKjT5_: ; @_Z26sort_keys_values_segmentedILj256ELj32ELj8ELb0EN10test_utils16custom_test_typeIfEEiNS0_4lessEEvPT3_PT4_PKjT5_
; %bb.0:
	s_load_dwordx2 s[0:1], s[4:5], 0x10
	s_load_dwordx4 s[12:15], s[4:5], 0x0
	v_lshrrev_b32_e32 v103, 5, v0
	v_lshl_or_b32 v0, s6, 3, v103
	v_mov_b32_e32 v1, 0
	v_lshlrev_b64 v[2:3], 2, v[0:1]
	s_waitcnt lgkmcnt(0)
	v_mov_b32_e32 v4, s1
	v_add_co_u32_e32 v2, vcc, s0, v2
	v_addc_co_u32_e32 v3, vcc, v4, v3, vcc
	global_load_dword v100, v[2:3], off
	v_mbcnt_lo_u32_b32 v2, -1, 0
	v_mbcnt_hi_u32_b32 v2, -1, v2
	v_lshlrev_b32_e32 v0, 8, v0
	v_lshlrev_b32_e32 v102, 3, v2
	v_lshlrev_b64 v[2:3], 3, v[0:1]
	v_and_b32_e32 v101, 0xf8, v102
	v_mov_b32_e32 v4, s13
	v_add_co_u32_e32 v2, vcc, s12, v2
	v_lshlrev_b32_e32 v104, 3, v101
	v_addc_co_u32_e32 v3, vcc, v4, v3, vcc
	s_mov_b32 s2, 0
	v_add_co_u32_e32 v78, vcc, v2, v104
	s_mov_b32 s3, s2
	v_addc_co_u32_e32 v79, vcc, 0, v3, vcc
	v_pk_mov_b32 v[82:83], s[2:3], s[2:3] op_sel:[0,1]
	s_waitcnt vmcnt(0)
	v_cmp_lt_u32_e32 vcc, v101, v100
	s_and_saveexec_b64 s[0:1], vcc
	s_cbranch_execz .LBB13_2
; %bb.1:
	global_load_dwordx2 v[82:83], v[78:79], off
.LBB13_2:
	s_or_b64 exec, exec, s[0:1]
	v_or_b32_e32 v76, 1, v101
	v_cmp_lt_u32_e64 s[0:1], v76, v100
	v_pk_mov_b32 v[62:63], s[2:3], s[2:3] op_sel:[0,1]
	s_and_saveexec_b64 s[2:3], s[0:1]
	s_cbranch_execz .LBB13_4
; %bb.3:
	global_load_dwordx2 v[62:63], v[78:79], off offset:8
.LBB13_4:
	s_or_b64 exec, exec, s[2:3]
	v_or_b32_e32 v75, 2, v101
	v_cmp_lt_u32_e64 s[2:3], v75, v100
	v_mov_b32_e32 v58, 0
	v_mov_b32_e32 v60, 0
	v_mov_b32_e32 v61, 0
	s_and_saveexec_b64 s[4:5], s[2:3]
	s_cbranch_execz .LBB13_6
; %bb.5:
	global_load_dwordx2 v[60:61], v[78:79], off offset:16
.LBB13_6:
	s_or_b64 exec, exec, s[4:5]
	v_or_b32_e32 v74, 3, v101
	v_cmp_lt_u32_e64 s[4:5], v74, v100
	v_mov_b32_e32 v59, 0
	s_and_saveexec_b64 s[6:7], s[4:5]
	s_cbranch_execz .LBB13_8
; %bb.7:
	global_load_dwordx2 v[58:59], v[78:79], off offset:24
.LBB13_8:
	s_or_b64 exec, exec, s[6:7]
	v_or_b32_e32 v73, 4, v101
	v_cmp_lt_u32_e64 s[6:7], v73, v100
	v_mov_b32_e32 v20, 0
	v_mov_b32_e32 v56, 0
	v_mov_b32_e32 v57, 0
	s_and_saveexec_b64 s[8:9], s[6:7]
	s_cbranch_execz .LBB13_10
; %bb.9:
	global_load_dwordx2 v[56:57], v[78:79], off offset:32
.LBB13_10:
	s_or_b64 exec, exec, s[8:9]
	v_or_b32_e32 v72, 5, v101
	v_cmp_lt_u32_e64 s[8:9], v72, v100
	v_mov_b32_e32 v21, 0
	;; [unrolled: 20-line block ×3, first 2 shown]
	s_and_saveexec_b64 s[16:17], s[12:13]
	s_cbranch_execz .LBB13_16
; %bb.15:
	global_load_dwordx2 v[16:17], v[78:79], off offset:56
.LBB13_16:
	s_or_b64 exec, exec, s[16:17]
	v_lshlrev_b64 v[0:1], 2, v[0:1]
	v_mov_b32_e32 v2, s15
	v_add_co_u32_e64 v0, s[14:15], s14, v0
	v_addc_co_u32_e64 v1, s[14:15], v2, v1, s[14:15]
	v_lshlrev_b32_e32 v2, 2, v101
	v_add_co_u32_e64 v80, s[14:15], v0, v2
	v_addc_co_u32_e64 v81, s[14:15], 0, v1, s[14:15]
                                        ; implicit-def: $vgpr70
	s_and_saveexec_b64 s[14:15], vcc
	s_cbranch_execz .LBB13_18
; %bb.17:
	global_load_dword v70, v[80:81], off
.LBB13_18:
	s_or_b64 exec, exec, s[14:15]
	s_waitcnt vmcnt(0)
	v_pk_mov_b32 v[0:1], v[70:71], v[70:71] op_sel:[0,1]
	v_pk_mov_b32 v[40:41], v[70:71], v[70:71] op_sel:[0,1]
	;; [unrolled: 1-line block ×24, first 2 shown]
	s_and_saveexec_b64 s[14:15], s[0:1]
	s_cbranch_execnz .LBB13_175
; %bb.19:
	s_or_b64 exec, exec, s[14:15]
                                        ; implicit-def: $vgpr64
	s_and_saveexec_b64 s[14:15], s[2:3]
	s_cbranch_execnz .LBB13_176
.LBB13_20:
	s_or_b64 exec, exec, s[14:15]
	s_and_saveexec_b64 s[14:15], s[4:5]
	s_cbranch_execnz .LBB13_177
.LBB13_21:
	s_or_b64 exec, exec, s[14:15]
	s_and_saveexec_b64 s[14:15], s[6:7]
	s_cbranch_execnz .LBB13_178
.LBB13_22:
	s_or_b64 exec, exec, s[14:15]
	s_and_saveexec_b64 s[14:15], s[8:9]
	s_cbranch_execnz .LBB13_179
.LBB13_23:
	s_or_b64 exec, exec, s[14:15]
	s_and_saveexec_b64 s[14:15], s[10:11]
	s_cbranch_execnz .LBB13_180
.LBB13_24:
	s_or_b64 exec, exec, s[14:15]
                                        ; implicit-def: $vgpr23
	s_and_saveexec_b64 s[14:15], s[12:13]
	s_cbranch_execz .LBB13_26
.LBB13_25:
	global_load_dword v7, v[80:81], off offset:28
	s_waitcnt vmcnt(0)
	v_mov_b32_e32 v23, v7
.LBB13_26:
	s_or_b64 exec, exec, s[14:15]
	s_getpc_b64 s[14:15]
	s_add_u32 s14, s14, _ZN9sort_lastIN10test_utils4lessENS0_16custom_test_typeIfEEE5valueE@rel32@lo+4
	s_addc_u32 s15, s15, _ZN9sort_lastIN10test_utils4lessENS0_16custom_test_typeIfEEE5valueE@rel32@hi+12
	s_load_dwordx2 s[16:17], s[14:15], 0x0
	v_cmp_lt_i32_e64 s[14:15], v76, v100
	s_waitcnt lgkmcnt(0)
	v_pk_mov_b32 v[98:99], s[16:17], s[16:17] op_sel:[0,1]
	v_mov_b32_e32 v76, s16
	v_mov_b32_e32 v77, s17
	s_and_saveexec_b64 s[18:19], s[14:15]
	s_cbranch_execz .LBB13_32
; %bb.27:
	v_cmp_nlt_f32_e64 s[14:15], s16, v62
	s_mov_b64 s[22:23], -1
	s_and_saveexec_b64 s[20:21], s[14:15]
	s_cbranch_execz .LBB13_31
; %bb.28:
	v_cmp_eq_f32_e64 s[14:15], s16, v62
	s_mov_b64 s[22:23], 0
	s_and_saveexec_b64 s[24:25], s[14:15]
; %bb.29:
	v_cmp_lt_f32_e64 s[14:15], s17, v63
	s_and_b64 s[22:23], s[14:15], exec
; %bb.30:
	s_or_b64 exec, exec, s[24:25]
	s_orn2_b64 s[22:23], s[22:23], exec
.LBB13_31:
	s_or_b64 exec, exec, s[20:21]
	v_mov_b32_e32 v76, s16
	v_mov_b32_e32 v77, s17
	v_cndmask_b32_e64 v76, v76, v62, s[22:23]
	v_cndmask_b32_e64 v77, v77, v63, s[22:23]
	v_pk_mov_b32 v[98:99], v[62:63], v[62:63] op_sel:[0,1]
.LBB13_32:
	s_or_b64 exec, exec, s[18:19]
	v_cmp_lt_i32_e64 s[14:15], v75, v100
	v_mov_b32_e32 v93, v76
	v_mov_b32_e32 v84, v77
	s_and_saveexec_b64 s[16:17], s[14:15]
	s_cbranch_execz .LBB13_38
; %bb.33:
	v_cmp_nlt_f32_e64 s[14:15], v76, v60
	s_mov_b64 s[20:21], -1
	s_and_saveexec_b64 s[18:19], s[14:15]
	s_cbranch_execz .LBB13_37
; %bb.34:
	v_cmp_eq_f32_e64 s[14:15], v76, v60
	s_mov_b64 s[20:21], 0
	s_and_saveexec_b64 s[22:23], s[14:15]
; %bb.35:
	v_cmp_lt_f32_e64 s[14:15], v77, v61
	s_and_b64 s[20:21], s[14:15], exec
; %bb.36:
	s_or_b64 exec, exec, s[22:23]
	s_orn2_b64 s[20:21], s[20:21], exec
.LBB13_37:
	s_or_b64 exec, exec, s[18:19]
	v_cndmask_b32_e64 v76, v76, v60, s[20:21]
	v_cndmask_b32_e64 v77, v77, v61, s[20:21]
	v_mov_b32_e32 v93, v60
	v_mov_b32_e32 v84, v61
.LBB13_38:
	s_or_b64 exec, exec, s[16:17]
	v_cmp_lt_i32_e64 s[14:15], v74, v100
	v_mov_b32_e32 v87, v76
	v_mov_b32_e32 v94, v77
	s_and_saveexec_b64 s[16:17], s[14:15]
	s_cbranch_execz .LBB13_44
; %bb.39:
	v_cmp_nlt_f32_e64 s[14:15], v76, v58
	s_mov_b64 s[20:21], -1
	s_and_saveexec_b64 s[18:19], s[14:15]
	s_cbranch_execz .LBB13_43
; %bb.40:
	v_cmp_eq_f32_e64 s[14:15], v76, v58
	s_mov_b64 s[20:21], 0
	s_and_saveexec_b64 s[22:23], s[14:15]
; %bb.41:
	v_cmp_lt_f32_e64 s[14:15], v77, v59
	s_and_b64 s[20:21], s[14:15], exec
; %bb.42:
	s_or_b64 exec, exec, s[22:23]
	s_orn2_b64 s[20:21], s[20:21], exec
.LBB13_43:
	s_or_b64 exec, exec, s[18:19]
	v_cndmask_b32_e64 v76, v76, v58, s[20:21]
	v_cndmask_b32_e64 v77, v77, v59, s[20:21]
	v_mov_b32_e32 v87, v58
	v_mov_b32_e32 v94, v59
.LBB13_44:
	;; [unrolled: 28-line block ×5, first 2 shown]
	s_or_b64 exec, exec, s[16:17]
	v_cmp_lt_i32_e64 s[14:15], v22, v100
	v_cndmask_b32_e64 v105, v77, v17, s[14:15]
	v_cndmask_b32_e64 v91, v76, v16, s[14:15]
	v_cmp_ge_i32_e64 s[14:15], v101, v100
                                        ; implicit-def: $vgpr96_vgpr97
	s_and_saveexec_b64 s[16:17], s[14:15]
	s_xor_b64 s[14:15], exec, s[16:17]
; %bb.63:
	v_mov_b32_e32 v96, v83
	v_mov_b32_e32 v97, v98
	;; [unrolled: 1-line block ×3, first 2 shown]
                                        ; implicit-def: $vgpr70
                                        ; implicit-def: $vgpr48_vgpr49_vgpr50_vgpr51_vgpr52_vgpr53_vgpr54_vgpr55
                                        ; implicit-def: $vgpr8_vgpr9_vgpr10_vgpr11_vgpr12_vgpr13_vgpr14_vgpr15
                                        ; implicit-def: $vgpr64
                                        ; implicit-def: $vgpr32_vgpr33_vgpr34_vgpr35_vgpr36_vgpr37_vgpr38_vgpr39
                                        ; implicit-def: $vgpr24_vgpr25_vgpr26_vgpr27_vgpr28_vgpr29_vgpr30_vgpr31
                                        ; implicit-def: $vgpr40_vgpr41_vgpr42_vgpr43_vgpr44_vgpr45_vgpr46_vgpr47
                                        ; implicit-def: $vgpr23
                                        ; implicit-def: $vgpr98_vgpr99
; %bb.64:
	s_andn2_saveexec_b64 s[20:21], s[14:15]
	s_cbranch_execz .LBB13_168
; %bb.65:
	v_cmp_eq_f32_e64 s[16:17], v98, v82
	v_cmp_lt_f32_e64 s[18:19], v99, v83
	v_cmp_lt_f32_e64 s[14:15], v98, v82
	s_and_b64 s[16:17], s[16:17], s[18:19]
	v_pk_mov_b32 v[56:57], v[70:71], v[70:71] op_sel:[0,1]
	s_or_b64 s[16:17], s[14:15], s[16:17]
	v_pk_mov_b32 v[58:59], v[72:73], v[72:73] op_sel:[0,1]
	v_pk_mov_b32 v[60:61], v[74:75], v[74:75] op_sel:[0,1]
	;; [unrolled: 1-line block ×3, first 2 shown]
	v_mov_b32_e32 v75, v99
	v_mov_b32_e32 v76, v98
	v_mov_b32_e32 v17, v70
	s_and_saveexec_b64 s[14:15], s[16:17]
	s_cbranch_execz .LBB13_67
; %bb.66:
	v_mov_b32_e32 v62, v71
	v_mov_b32_e32 v63, v70
	;; [unrolled: 1-line block ×3, first 2 shown]
	v_pk_mov_b32 v[0:1], v[62:63], v[62:63] op_sel:[0,1]
	v_pk_mov_b32 v[40:41], v[62:63], v[62:63] op_sel:[0,1]
	;; [unrolled: 1-line block ×28, first 2 shown]
	v_mov_b32_e32 v75, v83
	v_mov_b32_e32 v76, v82
	v_pk_mov_b32 v[82:83], v[98:99], v[98:99] op_sel:[0,1]
	v_mov_b32_e32 v17, v71
	v_mov_b32_e32 v71, v70
.LBB13_67:
	s_or_b64 exec, exec, s[14:15]
	v_cmp_lt_f32_e64 s[18:19], v87, v93
	v_cmp_nlt_f32_e64 s[14:15], v87, v93
	s_and_saveexec_b64 s[22:23], s[14:15]
; %bb.68:
	v_cmp_eq_f32_e64 s[14:15], v87, v93
	v_cmp_lt_f32_e64 s[16:17], v94, v84
	s_and_b64 s[14:15], s[14:15], s[16:17]
	s_andn2_b64 s[16:17], s[18:19], exec
	s_and_b64 s[14:15], s[14:15], exec
	s_or_b64 s[18:19], s[16:17], s[14:15]
; %bb.69:
	s_or_b64 exec, exec, s[22:23]
	v_mov_b32_e32 v70, v94
	v_mov_b32_e32 v73, v87
	;; [unrolled: 1-line block ×3, first 2 shown]
	s_and_saveexec_b64 s[14:15], s[18:19]
	s_cbranch_execz .LBB13_71
; %bb.70:
	v_pk_mov_b32 v[8:9], v[48:49], v[48:49] op_sel:[0,1]
	v_pk_mov_b32 v[10:11], v[50:51], v[50:51] op_sel:[0,1]
	v_pk_mov_b32 v[14:15], v[54:55], v[54:55] op_sel:[0,1]
	v_pk_mov_b32 v[12:13], v[52:53], v[52:53] op_sel:[0,1]
	v_mov_b32_e32 v10, v65
	v_pk_mov_b32 v[38:39], v[14:15], v[14:15] op_sel:[0,1]
	v_pk_mov_b32 v[34:35], v[10:11], v[10:11] op_sel:[0,1]
	v_pk_mov_b32 v[32:33], v[8:9], v[8:9] op_sel:[0,1]
	v_pk_mov_b32 v[36:37], v[12:13], v[12:13] op_sel:[0,1]
	v_mov_b32_e32 v35, v64
	;; [unrolled: 5-line block ×5, first 2 shown]
	v_mov_b32_e32 v7, v23
	v_mov_b32_e32 v70, v84
	v_mov_b32_e32 v73, v93
	v_mov_b32_e32 v84, v94
	v_mov_b32_e32 v93, v87
	v_mov_b32_e32 v18, v65
	v_mov_b32_e32 v65, v64
.LBB13_71:
	s_or_b64 exec, exec, s[14:15]
	v_cmp_lt_f32_e64 s[18:19], v85, v95
	v_cmp_nlt_f32_e64 s[14:15], v85, v95
	s_and_saveexec_b64 s[22:23], s[14:15]
; %bb.72:
	v_cmp_eq_f32_e64 s[14:15], v85, v95
	v_cmp_lt_f32_e64 s[16:17], v88, v86
	s_and_b64 s[14:15], s[14:15], s[16:17]
	s_andn2_b64 s[16:17], s[18:19], exec
	s_and_b64 s[14:15], s[14:15], exec
	s_or_b64 s[18:19], s[16:17], s[14:15]
; %bb.73:
	s_or_b64 exec, exec, s[22:23]
	v_mov_b32_e32 v72, v88
	v_mov_b32_e32 v94, v85
	;; [unrolled: 1-line block ×3, first 2 shown]
	s_and_saveexec_b64 s[14:15], s[18:19]
	s_cbranch_execz .LBB13_75
; %bb.74:
	v_pk_mov_b32 v[24:25], v[32:33], v[32:33] op_sel:[0,1]
	v_pk_mov_b32 v[28:29], v[36:37], v[36:37] op_sel:[0,1]
	v_pk_mov_b32 v[30:31], v[38:39], v[38:39] op_sel:[0,1]
	v_pk_mov_b32 v[26:27], v[34:35], v[34:35] op_sel:[0,1]
	v_mov_b32_e32 v28, v67
	v_pk_mov_b32 v[46:47], v[30:31], v[30:31] op_sel:[0,1]
	v_pk_mov_b32 v[44:45], v[28:29], v[28:29] op_sel:[0,1]
	v_pk_mov_b32 v[40:41], v[24:25], v[24:25] op_sel:[0,1]
	v_pk_mov_b32 v[42:43], v[26:27], v[26:27] op_sel:[0,1]
	v_mov_b32_e32 v45, v66
	;; [unrolled: 5-line block ×3, first 2 shown]
	v_mov_b32_e32 v7, v23
	v_mov_b32_e32 v72, v86
	;; [unrolled: 1-line block ×7, first 2 shown]
.LBB13_75:
	s_or_b64 exec, exec, s[14:15]
	v_cmp_lt_f32_e64 s[18:19], v91, v89
	v_cmp_nlt_f32_e64 s[14:15], v91, v89
	s_and_saveexec_b64 s[22:23], s[14:15]
; %bb.76:
	v_cmp_eq_f32_e64 s[14:15], v91, v89
	v_cmp_lt_f32_e64 s[16:17], v105, v90
	s_and_b64 s[14:15], s[14:15], s[16:17]
	s_andn2_b64 s[16:17], s[18:19], exec
	s_and_b64 s[14:15], s[14:15], exec
	s_or_b64 s[18:19], s[16:17], s[14:15]
; %bb.77:
	s_or_b64 exec, exec, s[22:23]
	v_mov_b32_e32 v64, v105
	v_mov_b32_e32 v77, v91
	;; [unrolled: 1-line block ×3, first 2 shown]
	s_and_saveexec_b64 s[14:15], s[18:19]
	s_cbranch_execz .LBB13_79
; %bb.78:
	v_pk_mov_b32 v[0:1], v[40:41], v[40:41] op_sel:[0,1]
	v_pk_mov_b32 v[6:7], v[46:47], v[46:47] op_sel:[0,1]
	;; [unrolled: 1-line block ×4, first 2 shown]
	v_mov_b32_e32 v6, v23
	v_mov_b32_e32 v7, v68
	;; [unrolled: 1-line block ×8, first 2 shown]
.LBB13_79:
	s_or_b64 exec, exec, s[14:15]
	v_cmp_nlt_f32_e64 s[14:15], v93, v76
	s_mov_b64 s[16:17], -1
	s_and_saveexec_b64 s[18:19], s[14:15]
	s_xor_b64 s[18:19], exec, s[18:19]
; %bb.80:
	v_cmp_eq_f32_e64 s[14:15], v93, v76
	v_cmp_lt_f32_e64 s[16:17], v84, v75
	s_and_b64 s[14:15], s[14:15], s[16:17]
	s_orn2_b64 s[16:17], s[14:15], exec
; %bb.81:
	s_or_b64 exec, exec, s[18:19]
	v_mov_b32_e32 v69, v84
	v_mov_b32_e32 v85, v93
	;; [unrolled: 1-line block ×3, first 2 shown]
	s_and_saveexec_b64 s[14:15], s[16:17]
	s_cbranch_execz .LBB13_83
; %bb.82:
	v_pk_mov_b32 v[48:49], v[56:57], v[56:57] op_sel:[0,1]
	v_mov_b32_e32 v49, v18
	v_pk_mov_b32 v[50:51], v[58:59], v[58:59] op_sel:[0,1]
	v_pk_mov_b32 v[52:53], v[60:61], v[60:61] op_sel:[0,1]
	;; [unrolled: 1-line block ×7, first 2 shown]
	v_mov_b32_e32 v10, v71
	v_pk_mov_b32 v[38:39], v[14:15], v[14:15] op_sel:[0,1]
	v_pk_mov_b32 v[34:35], v[10:11], v[10:11] op_sel:[0,1]
	v_pk_mov_b32 v[32:33], v[8:9], v[8:9] op_sel:[0,1]
	v_pk_mov_b32 v[36:37], v[12:13], v[12:13] op_sel:[0,1]
	v_mov_b32_e32 v35, v65
	v_pk_mov_b32 v[24:25], v[32:33], v[32:33] op_sel:[0,1]
	v_pk_mov_b32 v[28:29], v[36:37], v[36:37] op_sel:[0,1]
	v_pk_mov_b32 v[30:31], v[38:39], v[38:39] op_sel:[0,1]
	v_pk_mov_b32 v[26:27], v[34:35], v[34:35] op_sel:[0,1]
	;; [unrolled: 5-line block ×4, first 2 shown]
	v_mov_b32_e32 v6, v22
	v_mov_b32_e32 v7, v23
	;; [unrolled: 1-line block ×8, first 2 shown]
.LBB13_83:
	s_or_b64 exec, exec, s[14:15]
	v_cmp_lt_f32_e64 s[18:19], v95, v73
	v_cmp_nlt_f32_e64 s[14:15], v95, v73
	s_and_saveexec_b64 s[22:23], s[14:15]
; %bb.84:
	v_cmp_eq_f32_e64 s[14:15], v95, v73
	v_cmp_lt_f32_e64 s[16:17], v86, v70
	s_and_b64 s[14:15], s[14:15], s[16:17]
	s_andn2_b64 s[16:17], s[18:19], exec
	s_and_b64 s[14:15], s[14:15], exec
	s_or_b64 s[18:19], s[16:17], s[14:15]
; %bb.85:
	s_or_b64 exec, exec, s[22:23]
	v_mov_b32_e32 v71, v86
	v_mov_b32_e32 v91, v95
	;; [unrolled: 1-line block ×3, first 2 shown]
	s_and_saveexec_b64 s[14:15], s[18:19]
	s_cbranch_execz .LBB13_87
; %bb.86:
	v_pk_mov_b32 v[38:39], v[14:15], v[14:15] op_sel:[0,1]
	v_pk_mov_b32 v[34:35], v[10:11], v[10:11] op_sel:[0,1]
	v_pk_mov_b32 v[32:33], v[8:9], v[8:9] op_sel:[0,1]
	v_pk_mov_b32 v[36:37], v[12:13], v[12:13] op_sel:[0,1]
	v_mov_b32_e32 v35, v20
	v_pk_mov_b32 v[24:25], v[32:33], v[32:33] op_sel:[0,1]
	v_pk_mov_b32 v[28:29], v[36:37], v[36:37] op_sel:[0,1]
	v_pk_mov_b32 v[30:31], v[38:39], v[38:39] op_sel:[0,1]
	v_pk_mov_b32 v[26:27], v[34:35], v[34:35] op_sel:[0,1]
	v_mov_b32_e32 v28, v65
	;; [unrolled: 5-line block ×4, first 2 shown]
	v_mov_b32_e32 v7, v23
	v_mov_b32_e32 v71, v70
	;; [unrolled: 1-line block ×7, first 2 shown]
.LBB13_87:
	s_or_b64 exec, exec, s[14:15]
	v_cmp_lt_f32_e64 s[18:19], v89, v94
	v_cmp_nlt_f32_e64 s[14:15], v89, v94
	s_and_saveexec_b64 s[22:23], s[14:15]
; %bb.88:
	v_cmp_eq_f32_e64 s[14:15], v89, v94
	v_cmp_lt_f32_e64 s[16:17], v90, v72
	s_and_b64 s[14:15], s[14:15], s[16:17]
	s_andn2_b64 s[16:17], s[18:19], exec
	s_and_b64 s[14:15], s[14:15], exec
	s_or_b64 s[18:19], s[16:17], s[14:15]
; %bb.89:
	s_or_b64 exec, exec, s[22:23]
	v_mov_b32_e32 v92, v90
	v_mov_b32_e32 v93, v89
	;; [unrolled: 1-line block ×3, first 2 shown]
	s_and_saveexec_b64 s[14:15], s[18:19]
	s_cbranch_execz .LBB13_91
; %bb.90:
	v_pk_mov_b32 v[46:47], v[30:31], v[30:31] op_sel:[0,1]
	v_pk_mov_b32 v[44:45], v[28:29], v[28:29] op_sel:[0,1]
	;; [unrolled: 1-line block ×4, first 2 shown]
	v_mov_b32_e32 v45, v22
	v_pk_mov_b32 v[0:1], v[40:41], v[40:41] op_sel:[0,1]
	v_pk_mov_b32 v[6:7], v[46:47], v[46:47] op_sel:[0,1]
	;; [unrolled: 1-line block ×4, first 2 shown]
	v_mov_b32_e32 v6, v67
	v_mov_b32_e32 v7, v23
	;; [unrolled: 1-line block ×8, first 2 shown]
.LBB13_91:
	s_or_b64 exec, exec, s[14:15]
	v_cmp_eq_f32_e64 s[16:17], v76, v82
	v_cmp_lt_f32_e64 s[18:19], v75, v83
	v_cmp_lt_f32_e64 s[14:15], v76, v82
	s_and_b64 s[16:17], s[16:17], s[18:19]
	s_or_b64 s[16:17], s[14:15], s[16:17]
	v_mov_b32_e32 v74, v75
	v_mov_b32_e32 v84, v76
	;; [unrolled: 1-line block ×3, first 2 shown]
	s_and_saveexec_b64 s[14:15], s[16:17]
	s_cbranch_execz .LBB13_93
; %bb.92:
	v_pk_mov_b32 v[0:1], v[16:17], v[16:17] op_sel:[0,1]
	v_pk_mov_b32 v[46:47], v[22:23], v[22:23] op_sel:[0,1]
	;; [unrolled: 1-line block ×28, first 2 shown]
	v_mov_b32_e32 v74, v83
	v_mov_b32_e32 v84, v82
	;; [unrolled: 1-line block ×6, first 2 shown]
.LBB13_93:
	s_or_b64 exec, exec, s[14:15]
	v_cmp_lt_f32_e64 s[18:19], v73, v85
	v_cmp_nlt_f32_e64 s[14:15], v73, v85
	s_and_saveexec_b64 s[22:23], s[14:15]
; %bb.94:
	v_cmp_eq_f32_e64 s[14:15], v73, v85
	v_cmp_lt_f32_e64 s[16:17], v70, v69
	s_and_b64 s[14:15], s[14:15], s[16:17]
	s_andn2_b64 s[16:17], s[18:19], exec
	s_and_b64 s[14:15], s[14:15], exec
	s_or_b64 s[18:19], s[16:17], s[14:15]
; %bb.95:
	s_or_b64 exec, exec, s[22:23]
	v_mov_b32_e32 v75, v70
	v_mov_b32_e32 v87, v73
	;; [unrolled: 1-line block ×3, first 2 shown]
	s_and_saveexec_b64 s[14:15], s[18:19]
	s_cbranch_execz .LBB13_97
; %bb.96:
	v_pk_mov_b32 v[8:9], v[48:49], v[48:49] op_sel:[0,1]
	v_pk_mov_b32 v[10:11], v[50:51], v[50:51] op_sel:[0,1]
	v_pk_mov_b32 v[14:15], v[54:55], v[54:55] op_sel:[0,1]
	v_pk_mov_b32 v[12:13], v[52:53], v[52:53] op_sel:[0,1]
	v_mov_b32_e32 v10, v19
	v_pk_mov_b32 v[38:39], v[14:15], v[14:15] op_sel:[0,1]
	v_pk_mov_b32 v[34:35], v[10:11], v[10:11] op_sel:[0,1]
	v_pk_mov_b32 v[32:33], v[8:9], v[8:9] op_sel:[0,1]
	v_pk_mov_b32 v[36:37], v[12:13], v[12:13] op_sel:[0,1]
	v_mov_b32_e32 v35, v18
	;; [unrolled: 5-line block ×5, first 2 shown]
	v_mov_b32_e32 v7, v23
	v_mov_b32_e32 v75, v69
	;; [unrolled: 1-line block ×7, first 2 shown]
.LBB13_97:
	s_or_b64 exec, exec, s[14:15]
	v_cmp_lt_f32_e64 s[18:19], v94, v91
	v_cmp_nlt_f32_e64 s[14:15], v94, v91
	s_and_saveexec_b64 s[22:23], s[14:15]
; %bb.98:
	v_cmp_eq_f32_e64 s[14:15], v94, v91
	v_cmp_lt_f32_e64 s[16:17], v72, v71
	s_and_b64 s[14:15], s[14:15], s[16:17]
	s_andn2_b64 s[16:17], s[18:19], exec
	s_and_b64 s[14:15], s[14:15], exec
	s_or_b64 s[18:19], s[16:17], s[14:15]
; %bb.99:
	s_or_b64 exec, exec, s[22:23]
	v_mov_b32_e32 v76, v72
	v_mov_b32_e32 v88, v94
	;; [unrolled: 1-line block ×3, first 2 shown]
	s_and_saveexec_b64 s[14:15], s[18:19]
	s_cbranch_execz .LBB13_101
; %bb.100:
	v_pk_mov_b32 v[24:25], v[32:33], v[32:33] op_sel:[0,1]
	v_pk_mov_b32 v[28:29], v[36:37], v[36:37] op_sel:[0,1]
	v_pk_mov_b32 v[30:31], v[38:39], v[38:39] op_sel:[0,1]
	v_pk_mov_b32 v[26:27], v[34:35], v[34:35] op_sel:[0,1]
	v_mov_b32_e32 v28, v21
	v_pk_mov_b32 v[46:47], v[30:31], v[30:31] op_sel:[0,1]
	v_pk_mov_b32 v[44:45], v[28:29], v[28:29] op_sel:[0,1]
	v_pk_mov_b32 v[40:41], v[24:25], v[24:25] op_sel:[0,1]
	v_pk_mov_b32 v[42:43], v[26:27], v[26:27] op_sel:[0,1]
	v_mov_b32_e32 v45, v20
	;; [unrolled: 5-line block ×3, first 2 shown]
	v_mov_b32_e32 v7, v23
	v_mov_b32_e32 v76, v71
	v_mov_b32_e32 v88, v91
	v_mov_b32_e32 v71, v72
	v_mov_b32_e32 v91, v94
	v_mov_b32_e32 v68, v21
	v_mov_b32_e32 v21, v20
.LBB13_101:
	s_or_b64 exec, exec, s[14:15]
	v_cmp_lt_f32_e64 s[18:19], v77, v93
	v_cmp_nlt_f32_e64 s[14:15], v77, v93
	s_and_saveexec_b64 s[22:23], s[14:15]
; %bb.102:
	v_cmp_eq_f32_e64 s[14:15], v77, v93
	v_cmp_lt_f32_e64 s[16:17], v64, v92
	s_and_b64 s[14:15], s[14:15], s[16:17]
	s_andn2_b64 s[16:17], s[18:19], exec
	s_and_b64 s[14:15], s[14:15], exec
	s_or_b64 s[18:19], s[16:17], s[14:15]
; %bb.103:
	s_or_b64 exec, exec, s[22:23]
	v_mov_b32_e32 v72, v64
	v_mov_b32_e32 v73, v77
	;; [unrolled: 1-line block ×3, first 2 shown]
	s_and_saveexec_b64 s[14:15], s[18:19]
	s_cbranch_execz .LBB13_105
; %bb.104:
	v_pk_mov_b32 v[0:1], v[40:41], v[40:41] op_sel:[0,1]
	v_pk_mov_b32 v[6:7], v[46:47], v[46:47] op_sel:[0,1]
	v_pk_mov_b32 v[2:3], v[42:43], v[42:43] op_sel:[0,1]
	v_pk_mov_b32 v[4:5], v[44:45], v[44:45] op_sel:[0,1]
	v_mov_b32_e32 v6, v23
	v_mov_b32_e32 v7, v22
	;; [unrolled: 1-line block ×8, first 2 shown]
.LBB13_105:
	s_or_b64 exec, exec, s[14:15]
	v_cmp_lt_f32_e64 s[18:19], v85, v84
	v_cmp_nlt_f32_e64 s[14:15], v85, v84
	s_and_saveexec_b64 s[22:23], s[14:15]
; %bb.106:
	v_cmp_eq_f32_e64 s[14:15], v85, v84
	v_cmp_lt_f32_e64 s[16:17], v69, v74
	s_and_b64 s[14:15], s[14:15], s[16:17]
	s_andn2_b64 s[16:17], s[18:19], exec
	s_and_b64 s[14:15], s[14:15], exec
	s_or_b64 s[18:19], s[16:17], s[14:15]
; %bb.107:
	s_or_b64 exec, exec, s[22:23]
	v_mov_b32_e32 v77, v69
	v_mov_b32_e32 v89, v85
	;; [unrolled: 1-line block ×3, first 2 shown]
	s_and_saveexec_b64 s[14:15], s[18:19]
	s_cbranch_execz .LBB13_109
; %bb.108:
	v_pk_mov_b32 v[48:49], v[56:57], v[56:57] op_sel:[0,1]
	v_mov_b32_e32 v49, v66
	v_pk_mov_b32 v[50:51], v[58:59], v[58:59] op_sel:[0,1]
	v_pk_mov_b32 v[52:53], v[60:61], v[60:61] op_sel:[0,1]
	;; [unrolled: 1-line block ×7, first 2 shown]
	v_mov_b32_e32 v10, v16
	v_pk_mov_b32 v[38:39], v[14:15], v[14:15] op_sel:[0,1]
	v_pk_mov_b32 v[34:35], v[10:11], v[10:11] op_sel:[0,1]
	v_pk_mov_b32 v[32:33], v[8:9], v[8:9] op_sel:[0,1]
	v_pk_mov_b32 v[36:37], v[12:13], v[12:13] op_sel:[0,1]
	v_mov_b32_e32 v35, v19
	v_pk_mov_b32 v[24:25], v[32:33], v[32:33] op_sel:[0,1]
	v_pk_mov_b32 v[28:29], v[36:37], v[36:37] op_sel:[0,1]
	v_pk_mov_b32 v[30:31], v[38:39], v[38:39] op_sel:[0,1]
	v_pk_mov_b32 v[26:27], v[34:35], v[34:35] op_sel:[0,1]
	;; [unrolled: 5-line block ×4, first 2 shown]
	v_mov_b32_e32 v6, v70
	v_mov_b32_e32 v7, v23
	;; [unrolled: 1-line block ×8, first 2 shown]
.LBB13_109:
	s_or_b64 exec, exec, s[14:15]
	v_cmp_lt_f32_e64 s[18:19], v91, v87
	v_cmp_nlt_f32_e64 s[14:15], v91, v87
	s_and_saveexec_b64 s[22:23], s[14:15]
; %bb.110:
	v_cmp_eq_f32_e64 s[14:15], v91, v87
	v_cmp_lt_f32_e64 s[16:17], v71, v75
	s_and_b64 s[14:15], s[14:15], s[16:17]
	s_andn2_b64 s[16:17], s[18:19], exec
	s_and_b64 s[14:15], s[14:15], exec
	s_or_b64 s[18:19], s[16:17], s[14:15]
; %bb.111:
	s_or_b64 exec, exec, s[22:23]
	v_mov_b32_e32 v85, v71
	v_mov_b32_e32 v90, v91
	;; [unrolled: 1-line block ×3, first 2 shown]
	s_and_saveexec_b64 s[14:15], s[18:19]
	s_cbranch_execz .LBB13_113
; %bb.112:
	v_pk_mov_b32 v[38:39], v[14:15], v[14:15] op_sel:[0,1]
	v_pk_mov_b32 v[34:35], v[10:11], v[10:11] op_sel:[0,1]
	v_pk_mov_b32 v[32:33], v[8:9], v[8:9] op_sel:[0,1]
	v_pk_mov_b32 v[36:37], v[12:13], v[12:13] op_sel:[0,1]
	v_mov_b32_e32 v35, v68
	v_pk_mov_b32 v[24:25], v[32:33], v[32:33] op_sel:[0,1]
	v_pk_mov_b32 v[28:29], v[36:37], v[36:37] op_sel:[0,1]
	v_pk_mov_b32 v[30:31], v[38:39], v[38:39] op_sel:[0,1]
	v_pk_mov_b32 v[26:27], v[34:35], v[34:35] op_sel:[0,1]
	v_mov_b32_e32 v28, v19
	;; [unrolled: 5-line block ×4, first 2 shown]
	v_mov_b32_e32 v7, v23
	v_mov_b32_e32 v85, v75
	;; [unrolled: 1-line block ×7, first 2 shown]
.LBB13_113:
	s_or_b64 exec, exec, s[14:15]
	v_cmp_lt_f32_e64 s[18:19], v93, v88
	v_cmp_nlt_f32_e64 s[14:15], v93, v88
	s_and_saveexec_b64 s[22:23], s[14:15]
; %bb.114:
	v_cmp_eq_f32_e64 s[14:15], v93, v88
	v_cmp_lt_f32_e64 s[16:17], v92, v76
	s_and_b64 s[14:15], s[14:15], s[16:17]
	s_andn2_b64 s[16:17], s[18:19], exec
	s_and_b64 s[14:15], s[14:15], exec
	s_or_b64 s[18:19], s[16:17], s[14:15]
; %bb.115:
	s_or_b64 exec, exec, s[22:23]
	v_mov_b32_e32 v86, v92
	v_mov_b32_e32 v91, v93
	;; [unrolled: 1-line block ×3, first 2 shown]
	s_and_saveexec_b64 s[14:15], s[18:19]
	s_cbranch_execz .LBB13_117
; %bb.116:
	v_pk_mov_b32 v[46:47], v[30:31], v[30:31] op_sel:[0,1]
	v_pk_mov_b32 v[44:45], v[28:29], v[28:29] op_sel:[0,1]
	v_pk_mov_b32 v[40:41], v[24:25], v[24:25] op_sel:[0,1]
	v_pk_mov_b32 v[42:43], v[26:27], v[26:27] op_sel:[0,1]
	v_mov_b32_e32 v45, v70
	v_pk_mov_b32 v[0:1], v[40:41], v[40:41] op_sel:[0,1]
	v_pk_mov_b32 v[6:7], v[46:47], v[46:47] op_sel:[0,1]
	;; [unrolled: 1-line block ×4, first 2 shown]
	v_mov_b32_e32 v6, v21
	v_mov_b32_e32 v7, v23
	;; [unrolled: 1-line block ×8, first 2 shown]
.LBB13_117:
	s_or_b64 exec, exec, s[14:15]
	v_cmp_lt_f32_e64 s[18:19], v84, v82
	v_cmp_nlt_f32_e64 s[14:15], v84, v82
	s_and_saveexec_b64 s[22:23], s[14:15]
; %bb.118:
	v_cmp_eq_f32_e64 s[14:15], v84, v82
	v_cmp_lt_f32_e64 s[16:17], v74, v83
	s_and_b64 s[14:15], s[14:15], s[16:17]
	s_andn2_b64 s[16:17], s[18:19], exec
	s_and_b64 s[14:15], s[14:15], exec
	s_or_b64 s[18:19], s[16:17], s[14:15]
; %bb.119:
	s_or_b64 exec, exec, s[22:23]
	v_mov_b32_e32 v92, v74
	v_mov_b32_e32 v93, v84
	;; [unrolled: 1-line block ×3, first 2 shown]
	s_and_saveexec_b64 s[14:15], s[18:19]
	s_cbranch_execz .LBB13_121
; %bb.120:
	v_mov_b32_e32 v71, v23
	v_pk_mov_b32 v[0:1], v[64:65], v[64:65] op_sel:[0,1]
	v_pk_mov_b32 v[40:41], v[64:65], v[64:65] op_sel:[0,1]
	;; [unrolled: 1-line block ×28, first 2 shown]
	v_mov_b32_e32 v92, v83
	v_mov_b32_e32 v93, v82
	;; [unrolled: 1-line block ×6, first 2 shown]
.LBB13_121:
	s_or_b64 exec, exec, s[14:15]
	v_cmp_lt_f32_e64 s[18:19], v87, v89
	v_cmp_nlt_f32_e64 s[14:15], v87, v89
	s_and_saveexec_b64 s[22:23], s[14:15]
; %bb.122:
	v_cmp_eq_f32_e64 s[14:15], v87, v89
	v_cmp_lt_f32_e64 s[16:17], v75, v77
	s_and_b64 s[14:15], s[14:15], s[16:17]
	s_andn2_b64 s[16:17], s[18:19], exec
	s_and_b64 s[14:15], s[14:15], exec
	s_or_b64 s[18:19], s[16:17], s[14:15]
; %bb.123:
	s_or_b64 exec, exec, s[22:23]
	v_mov_b32_e32 v74, v75
	v_mov_b32_e32 v94, v87
	;; [unrolled: 1-line block ×3, first 2 shown]
	s_and_saveexec_b64 s[14:15], s[18:19]
	s_cbranch_execz .LBB13_125
; %bb.124:
	v_pk_mov_b32 v[8:9], v[48:49], v[48:49] op_sel:[0,1]
	v_pk_mov_b32 v[10:11], v[50:51], v[50:51] op_sel:[0,1]
	v_pk_mov_b32 v[14:15], v[54:55], v[54:55] op_sel:[0,1]
	v_pk_mov_b32 v[12:13], v[52:53], v[52:53] op_sel:[0,1]
	v_mov_b32_e32 v10, v67
	v_pk_mov_b32 v[38:39], v[14:15], v[14:15] op_sel:[0,1]
	v_pk_mov_b32 v[34:35], v[10:11], v[10:11] op_sel:[0,1]
	v_pk_mov_b32 v[32:33], v[8:9], v[8:9] op_sel:[0,1]
	v_pk_mov_b32 v[36:37], v[12:13], v[12:13] op_sel:[0,1]
	v_mov_b32_e32 v35, v66
	;; [unrolled: 5-line block ×5, first 2 shown]
	v_mov_b32_e32 v7, v23
	v_mov_b32_e32 v74, v77
	v_mov_b32_e32 v94, v89
	v_mov_b32_e32 v77, v75
	v_mov_b32_e32 v89, v87
	v_mov_b32_e32 v18, v67
	v_mov_b32_e32 v67, v66
.LBB13_125:
	s_or_b64 exec, exec, s[14:15]
	v_cmp_lt_f32_e64 s[18:19], v88, v90
	v_cmp_nlt_f32_e64 s[14:15], v88, v90
	s_and_saveexec_b64 s[22:23], s[14:15]
; %bb.126:
	v_cmp_eq_f32_e64 s[14:15], v88, v90
	v_cmp_lt_f32_e64 s[16:17], v76, v85
	s_and_b64 s[14:15], s[14:15], s[16:17]
	s_andn2_b64 s[16:17], s[18:19], exec
	s_and_b64 s[14:15], s[14:15], exec
	s_or_b64 s[18:19], s[16:17], s[14:15]
; %bb.127:
	s_or_b64 exec, exec, s[22:23]
	v_mov_b32_e32 v75, v76
	v_mov_b32_e32 v95, v88
	;; [unrolled: 1-line block ×3, first 2 shown]
	s_and_saveexec_b64 s[14:15], s[18:19]
	s_cbranch_execz .LBB13_129
; %bb.128:
	v_pk_mov_b32 v[24:25], v[32:33], v[32:33] op_sel:[0,1]
	v_pk_mov_b32 v[28:29], v[36:37], v[36:37] op_sel:[0,1]
	v_pk_mov_b32 v[30:31], v[38:39], v[38:39] op_sel:[0,1]
	v_pk_mov_b32 v[26:27], v[34:35], v[34:35] op_sel:[0,1]
	v_mov_b32_e32 v28, v69
	v_pk_mov_b32 v[46:47], v[30:31], v[30:31] op_sel:[0,1]
	v_pk_mov_b32 v[44:45], v[28:29], v[28:29] op_sel:[0,1]
	v_pk_mov_b32 v[40:41], v[24:25], v[24:25] op_sel:[0,1]
	v_pk_mov_b32 v[42:43], v[26:27], v[26:27] op_sel:[0,1]
	v_mov_b32_e32 v45, v68
	;; [unrolled: 5-line block ×3, first 2 shown]
	v_mov_b32_e32 v7, v23
	v_mov_b32_e32 v75, v85
	;; [unrolled: 1-line block ×7, first 2 shown]
.LBB13_129:
	s_or_b64 exec, exec, s[14:15]
	v_cmp_lt_f32_e64 s[18:19], v73, v91
	v_cmp_nlt_f32_e64 s[14:15], v73, v91
	s_and_saveexec_b64 s[22:23], s[14:15]
; %bb.130:
	v_cmp_eq_f32_e64 s[14:15], v73, v91
	v_cmp_lt_f32_e64 s[16:17], v72, v86
	s_and_b64 s[14:15], s[14:15], s[16:17]
	s_andn2_b64 s[16:17], s[18:19], exec
	s_and_b64 s[14:15], s[14:15], exec
	s_or_b64 s[18:19], s[16:17], s[14:15]
; %bb.131:
	s_or_b64 exec, exec, s[22:23]
	v_mov_b32_e32 v66, v72
	v_mov_b32_e32 v65, v73
	;; [unrolled: 1-line block ×3, first 2 shown]
	s_and_saveexec_b64 s[14:15], s[18:19]
	s_cbranch_execz .LBB13_133
; %bb.132:
	v_pk_mov_b32 v[0:1], v[40:41], v[40:41] op_sel:[0,1]
	v_pk_mov_b32 v[6:7], v[46:47], v[46:47] op_sel:[0,1]
	;; [unrolled: 1-line block ×4, first 2 shown]
	v_mov_b32_e32 v6, v23
	v_mov_b32_e32 v7, v70
	v_mov_b32_e32 v66, v86
	v_mov_b32_e32 v65, v91
	v_mov_b32_e32 v86, v72
	v_mov_b32_e32 v91, v73
	v_mov_b32_e32 v22, v23
	v_mov_b32_e32 v23, v70
.LBB13_133:
	s_or_b64 exec, exec, s[14:15]
	v_cmp_lt_f32_e64 s[18:19], v89, v93
	v_cmp_nlt_f32_e64 s[14:15], v89, v93
	s_and_saveexec_b64 s[22:23], s[14:15]
; %bb.134:
	v_cmp_eq_f32_e64 s[14:15], v89, v93
	v_cmp_lt_f32_e64 s[16:17], v77, v92
	s_and_b64 s[14:15], s[14:15], s[16:17]
	s_andn2_b64 s[16:17], s[18:19], exec
	s_and_b64 s[14:15], s[14:15], exec
	s_or_b64 s[18:19], s[16:17], s[14:15]
; %bb.135:
	s_or_b64 exec, exec, s[22:23]
	v_mov_b32_e32 v84, v77
	v_mov_b32_e32 v71, v89
	;; [unrolled: 1-line block ×3, first 2 shown]
	s_and_saveexec_b64 s[14:15], s[18:19]
	s_cbranch_execz .LBB13_137
; %bb.136:
	v_pk_mov_b32 v[48:49], v[56:57], v[56:57] op_sel:[0,1]
	v_mov_b32_e32 v49, v18
	v_pk_mov_b32 v[50:51], v[58:59], v[58:59] op_sel:[0,1]
	v_pk_mov_b32 v[52:53], v[60:61], v[60:61] op_sel:[0,1]
	;; [unrolled: 1-line block ×7, first 2 shown]
	v_mov_b32_e32 v10, v64
	v_pk_mov_b32 v[38:39], v[14:15], v[14:15] op_sel:[0,1]
	v_pk_mov_b32 v[34:35], v[10:11], v[10:11] op_sel:[0,1]
	v_pk_mov_b32 v[32:33], v[8:9], v[8:9] op_sel:[0,1]
	v_pk_mov_b32 v[36:37], v[12:13], v[12:13] op_sel:[0,1]
	v_mov_b32_e32 v35, v67
	v_pk_mov_b32 v[24:25], v[32:33], v[32:33] op_sel:[0,1]
	v_pk_mov_b32 v[28:29], v[36:37], v[36:37] op_sel:[0,1]
	v_pk_mov_b32 v[30:31], v[38:39], v[38:39] op_sel:[0,1]
	v_pk_mov_b32 v[26:27], v[34:35], v[34:35] op_sel:[0,1]
	;; [unrolled: 5-line block ×4, first 2 shown]
	v_mov_b32_e32 v6, v22
	v_mov_b32_e32 v7, v23
	;; [unrolled: 1-line block ×8, first 2 shown]
.LBB13_137:
	s_or_b64 exec, exec, s[14:15]
	v_cmp_lt_f32_e64 s[18:19], v90, v94
	v_cmp_nlt_f32_e64 s[14:15], v90, v94
	s_and_saveexec_b64 s[22:23], s[14:15]
; %bb.138:
	v_cmp_eq_f32_e64 s[14:15], v90, v94
	v_cmp_lt_f32_e64 s[16:17], v85, v74
	s_and_b64 s[14:15], s[14:15], s[16:17]
	s_andn2_b64 s[16:17], s[18:19], exec
	s_and_b64 s[14:15], s[14:15], exec
	s_or_b64 s[18:19], s[16:17], s[14:15]
; %bb.139:
	s_or_b64 exec, exec, s[22:23]
	v_mov_b32_e32 v68, v85
	v_mov_b32_e32 v87, v90
	;; [unrolled: 1-line block ×3, first 2 shown]
	s_and_saveexec_b64 s[14:15], s[18:19]
	s_cbranch_execz .LBB13_141
; %bb.140:
	v_pk_mov_b32 v[38:39], v[14:15], v[14:15] op_sel:[0,1]
	v_pk_mov_b32 v[34:35], v[10:11], v[10:11] op_sel:[0,1]
	v_pk_mov_b32 v[32:33], v[8:9], v[8:9] op_sel:[0,1]
	v_pk_mov_b32 v[36:37], v[12:13], v[12:13] op_sel:[0,1]
	v_mov_b32_e32 v35, v20
	v_pk_mov_b32 v[24:25], v[32:33], v[32:33] op_sel:[0,1]
	v_pk_mov_b32 v[28:29], v[36:37], v[36:37] op_sel:[0,1]
	v_pk_mov_b32 v[30:31], v[38:39], v[38:39] op_sel:[0,1]
	v_pk_mov_b32 v[26:27], v[34:35], v[34:35] op_sel:[0,1]
	v_mov_b32_e32 v28, v67
	v_pk_mov_b32 v[46:47], v[30:31], v[30:31] op_sel:[0,1]
	v_pk_mov_b32 v[44:45], v[28:29], v[28:29] op_sel:[0,1]
	v_pk_mov_b32 v[40:41], v[24:25], v[24:25] op_sel:[0,1]
	v_pk_mov_b32 v[42:43], v[26:27], v[26:27] op_sel:[0,1]
	v_mov_b32_e32 v45, v69
	v_pk_mov_b32 v[0:1], v[40:41], v[40:41] op_sel:[0,1]
	v_pk_mov_b32 v[6:7], v[46:47], v[46:47] op_sel:[0,1]
	v_pk_mov_b32 v[2:3], v[42:43], v[42:43] op_sel:[0,1]
	v_pk_mov_b32 v[4:5], v[44:45], v[44:45] op_sel:[0,1]
	v_mov_b32_e32 v6, v22
	v_mov_b32_e32 v7, v23
	v_mov_b32_e32 v68, v74
	;; [unrolled: 1-line block ×7, first 2 shown]
.LBB13_141:
	s_or_b64 exec, exec, s[14:15]
	v_cmp_lt_f32_e64 s[18:19], v91, v95
	v_cmp_nlt_f32_e64 s[14:15], v91, v95
	s_and_saveexec_b64 s[22:23], s[14:15]
; %bb.142:
	v_cmp_eq_f32_e64 s[14:15], v91, v95
	v_cmp_lt_f32_e64 s[16:17], v86, v75
	s_and_b64 s[14:15], s[14:15], s[16:17]
	s_andn2_b64 s[16:17], s[18:19], exec
	s_and_b64 s[14:15], s[14:15], exec
	s_or_b64 s[18:19], s[16:17], s[14:15]
; %bb.143:
	s_or_b64 exec, exec, s[22:23]
	v_mov_b32_e32 v64, v86
	v_mov_b32_e32 v67, v91
	;; [unrolled: 1-line block ×3, first 2 shown]
	s_and_saveexec_b64 s[14:15], s[18:19]
	s_cbranch_execz .LBB13_145
; %bb.144:
	v_pk_mov_b32 v[46:47], v[30:31], v[30:31] op_sel:[0,1]
	v_pk_mov_b32 v[44:45], v[28:29], v[28:29] op_sel:[0,1]
	;; [unrolled: 1-line block ×4, first 2 shown]
	v_mov_b32_e32 v45, v22
	v_pk_mov_b32 v[0:1], v[40:41], v[40:41] op_sel:[0,1]
	v_pk_mov_b32 v[6:7], v[46:47], v[46:47] op_sel:[0,1]
	;; [unrolled: 1-line block ×4, first 2 shown]
	v_mov_b32_e32 v6, v69
	v_mov_b32_e32 v7, v23
	;; [unrolled: 1-line block ×8, first 2 shown]
.LBB13_145:
	s_or_b64 exec, exec, s[14:15]
	v_cmp_lt_f32_e64 s[18:19], v93, v82
	v_cmp_nlt_f32_e64 s[14:15], v93, v82
	s_and_saveexec_b64 s[22:23], s[14:15]
; %bb.146:
	v_cmp_eq_f32_e64 s[14:15], v93, v82
	v_cmp_lt_f32_e64 s[16:17], v92, v83
	s_and_b64 s[14:15], s[14:15], s[16:17]
	s_andn2_b64 s[16:17], s[18:19], exec
	s_and_b64 s[14:15], s[14:15], exec
	s_or_b64 s[18:19], s[16:17], s[14:15]
; %bb.147:
	s_or_b64 exec, exec, s[22:23]
	v_mov_b32_e32 v70, v92
	v_mov_b32_e32 v97, v93
	s_and_saveexec_b64 s[14:15], s[18:19]
	s_cbranch_execz .LBB13_149
; %bb.148:
	v_pk_mov_b32 v[0:1], v[16:17], v[16:17] op_sel:[0,1]
	v_pk_mov_b32 v[46:47], v[22:23], v[22:23] op_sel:[0,1]
	v_pk_mov_b32 v[30:31], v[22:23], v[22:23] op_sel:[0,1]
	v_pk_mov_b32 v[38:39], v[22:23], v[22:23] op_sel:[0,1]
	v_pk_mov_b32 v[8:9], v[16:17], v[16:17] op_sel:[0,1]
	v_pk_mov_b32 v[54:55], v[22:23], v[22:23] op_sel:[0,1]
	v_pk_mov_b32 v[62:63], v[22:23], v[22:23] op_sel:[0,1]
	v_pk_mov_b32 v[2:3], v[18:19], v[18:19] op_sel:[0,1]
	v_pk_mov_b32 v[4:5], v[20:21], v[20:21] op_sel:[0,1]
	v_pk_mov_b32 v[6:7], v[22:23], v[22:23] op_sel:[0,1]
	v_pk_mov_b32 v[44:45], v[20:21], v[20:21] op_sel:[0,1]
	v_pk_mov_b32 v[42:43], v[18:19], v[18:19] op_sel:[0,1]
	v_pk_mov_b32 v[40:41], v[16:17], v[16:17] op_sel:[0,1]
	v_pk_mov_b32 v[28:29], v[20:21], v[20:21] op_sel:[0,1]
	v_pk_mov_b32 v[26:27], v[18:19], v[18:19] op_sel:[0,1]
	v_pk_mov_b32 v[24:25], v[16:17], v[16:17] op_sel:[0,1]
	v_pk_mov_b32 v[36:37], v[20:21], v[20:21] op_sel:[0,1]
	v_pk_mov_b32 v[34:35], v[18:19], v[18:19] op_sel:[0,1]
	v_pk_mov_b32 v[32:33], v[16:17], v[16:17] op_sel:[0,1]
	v_pk_mov_b32 v[10:11], v[18:19], v[18:19] op_sel:[0,1]
	v_pk_mov_b32 v[12:13], v[20:21], v[20:21] op_sel:[0,1]
	v_pk_mov_b32 v[14:15], v[22:23], v[22:23] op_sel:[0,1]
	v_pk_mov_b32 v[52:53], v[20:21], v[20:21] op_sel:[0,1]
	v_pk_mov_b32 v[50:51], v[18:19], v[18:19] op_sel:[0,1]
	v_pk_mov_b32 v[48:49], v[16:17], v[16:17] op_sel:[0,1]
	v_pk_mov_b32 v[60:61], v[20:21], v[20:21] op_sel:[0,1]
	v_pk_mov_b32 v[58:59], v[18:19], v[18:19] op_sel:[0,1]
	v_pk_mov_b32 v[56:57], v[16:17], v[16:17] op_sel:[0,1]
	v_mov_b32_e32 v70, v83
	v_mov_b32_e32 v97, v82
	;; [unrolled: 1-line block ×5, first 2 shown]
.LBB13_149:
	s_or_b64 exec, exec, s[14:15]
	v_cmp_lt_f32_e64 s[18:19], v94, v71
	v_cmp_nlt_f32_e64 s[14:15], v94, v71
	s_and_saveexec_b64 s[22:23], s[14:15]
; %bb.150:
	v_cmp_eq_f32_e64 s[14:15], v94, v71
	v_cmp_lt_f32_e64 s[16:17], v74, v84
	s_and_b64 s[14:15], s[14:15], s[16:17]
	s_andn2_b64 s[16:17], s[18:19], exec
	s_and_b64 s[14:15], s[14:15], exec
	s_or_b64 s[18:19], s[16:17], s[14:15]
; %bb.151:
	s_or_b64 exec, exec, s[22:23]
	v_mov_b32_e32 v86, v74
	v_mov_b32_e32 v69, v94
	;; [unrolled: 1-line block ×3, first 2 shown]
	s_and_saveexec_b64 s[14:15], s[18:19]
	s_cbranch_execz .LBB13_153
; %bb.152:
	v_mov_b32_e32 v50, v19
	v_pk_mov_b32 v[32:33], v[48:49], v[48:49] op_sel:[0,1]
	v_pk_mov_b32 v[34:35], v[50:51], v[50:51] op_sel:[0,1]
	v_pk_mov_b32 v[36:37], v[52:53], v[52:53] op_sel:[0,1]
	v_pk_mov_b32 v[38:39], v[54:55], v[54:55] op_sel:[0,1]
	v_mov_b32_e32 v35, v18
	v_pk_mov_b32 v[24:25], v[32:33], v[32:33] op_sel:[0,1]
	v_pk_mov_b32 v[28:29], v[36:37], v[36:37] op_sel:[0,1]
	v_pk_mov_b32 v[30:31], v[38:39], v[38:39] op_sel:[0,1]
	v_pk_mov_b32 v[26:27], v[34:35], v[34:35] op_sel:[0,1]
	;; [unrolled: 5-line block ×4, first 2 shown]
	v_pk_mov_b32 v[4:5], v[44:45], v[44:45] op_sel:[0,1]
	v_mov_b32_e32 v6, v22
	v_mov_b32_e32 v7, v23
	v_pk_mov_b32 v[10:11], v[50:51], v[50:51] op_sel:[0,1]
	v_pk_mov_b32 v[12:13], v[52:53], v[52:53] op_sel:[0,1]
	;; [unrolled: 1-line block ×3, first 2 shown]
	v_mov_b32_e32 v86, v84
	v_mov_b32_e32 v69, v71
	;; [unrolled: 1-line block ×6, first 2 shown]
.LBB13_153:
	s_or_b64 exec, exec, s[14:15]
	v_cmp_lt_f32_e64 s[18:19], v95, v87
	v_cmp_nlt_f32_e64 s[14:15], v95, v87
	s_and_saveexec_b64 s[22:23], s[14:15]
; %bb.154:
	v_cmp_eq_f32_e64 s[14:15], v95, v87
	v_cmp_lt_f32_e64 s[16:17], v75, v68
	s_and_b64 s[14:15], s[14:15], s[16:17]
	s_andn2_b64 s[16:17], s[18:19], exec
	s_and_b64 s[14:15], s[14:15], exec
	s_or_b64 s[18:19], s[16:17], s[14:15]
; %bb.155:
	s_or_b64 exec, exec, s[22:23]
	v_mov_b32_e32 v88, v75
	v_mov_b32_e32 v17, v95
	;; [unrolled: 1-line block ×3, first 2 shown]
	s_and_saveexec_b64 s[14:15], s[18:19]
	s_cbranch_execz .LBB13_157
; %bb.156:
	v_mov_b32_e32 v36, v21
	v_pk_mov_b32 v[46:47], v[38:39], v[38:39] op_sel:[0,1]
	v_pk_mov_b32 v[44:45], v[36:37], v[36:37] op_sel:[0,1]
	;; [unrolled: 1-line block ×4, first 2 shown]
	v_mov_b32_e32 v45, v20
	v_pk_mov_b32 v[0:1], v[40:41], v[40:41] op_sel:[0,1]
	v_pk_mov_b32 v[6:7], v[46:47], v[46:47] op_sel:[0,1]
	;; [unrolled: 1-line block ×5, first 2 shown]
	v_mov_b32_e32 v6, v22
	v_mov_b32_e32 v7, v23
	v_pk_mov_b32 v[26:27], v[34:35], v[34:35] op_sel:[0,1]
	v_pk_mov_b32 v[28:29], v[36:37], v[36:37] op_sel:[0,1]
	;; [unrolled: 1-line block ×3, first 2 shown]
	v_mov_b32_e32 v88, v68
	v_mov_b32_e32 v17, v87
	;; [unrolled: 1-line block ×5, first 2 shown]
.LBB13_157:
	s_or_b64 exec, exec, s[14:15]
	v_cmp_eq_f32_e64 s[16:17], v65, v67
	v_cmp_lt_f32_e64 s[18:19], v66, v64
	v_cmp_lt_f32_e64 s[14:15], v65, v67
	s_and_b64 s[16:17], s[16:17], s[18:19]
	s_or_b64 s[16:17], s[14:15], s[16:17]
	v_pk_mov_b32 v[90:91], v[64:65], v[64:65] op_sel:[0,1]
	v_pk_mov_b32 v[32:33], v[64:65], v[64:65] op_sel:[0,1]
	v_mov_b32_e32 v105, v66
	v_mov_b32_e32 v89, v67
	;; [unrolled: 1-line block ×3, first 2 shown]
	s_and_saveexec_b64 s[14:15], s[16:17]
	s_cbranch_execz .LBB13_159
; %bb.158:
	v_mov_b32_e32 v46, v23
	v_mov_b32_e32 v47, v22
	v_pk_mov_b32 v[0:1], v[40:41], v[40:41] op_sel:[0,1]
	v_pk_mov_b32 v[2:3], v[42:43], v[42:43] op_sel:[0,1]
	;; [unrolled: 1-line block ×6, first 2 shown]
	v_mov_b32_e32 v105, v64
	v_mov_b32_e32 v89, v65
	;; [unrolled: 1-line block ×6, first 2 shown]
.LBB13_159:
	s_or_b64 exec, exec, s[14:15]
	v_cmp_eq_f32_e64 s[16:17], v71, v97
	v_cmp_lt_f32_e64 s[18:19], v84, v70
	v_cmp_lt_f32_e64 s[14:15], v71, v97
	s_and_b64 s[16:17], s[16:17], s[18:19]
	s_or_b64 s[16:17], s[14:15], s[16:17]
	v_pk_mov_b32 v[92:93], v[70:71], v[70:71] op_sel:[0,1]
	s_and_saveexec_b64 s[14:15], s[16:17]
	s_cbranch_execz .LBB13_161
; %bb.160:
	v_mov_b32_e32 v58, v16
	v_pk_mov_b32 v[24:25], v[56:57], v[56:57] op_sel:[0,1]
	v_pk_mov_b32 v[26:27], v[58:59], v[58:59] op_sel:[0,1]
	;; [unrolled: 1-line block ×4, first 2 shown]
	v_mov_b32_e32 v27, v19
	v_mov_b32_e32 v28, v36
	v_pk_mov_b32 v[0:1], v[24:25], v[24:25] op_sel:[0,1]
	v_mov_b32_e32 v96, v84
	v_pk_mov_b32 v[4:5], v[28:29], v[28:29] op_sel:[0,1]
	v_pk_mov_b32 v[6:7], v[30:31], v[30:31] op_sel:[0,1]
	;; [unrolled: 1-line block ×4, first 2 shown]
	v_mov_b32_e32 v5, v21
	v_mov_b32_e32 v6, v18
	v_mov_b32_e32 v7, v23
	v_pk_mov_b32 v[10:11], v[58:59], v[58:59] op_sel:[0,1]
	v_pk_mov_b32 v[12:13], v[60:61], v[60:61] op_sel:[0,1]
	;; [unrolled: 1-line block ×4, first 2 shown]
	v_mov_b32_e32 v84, v70
	v_mov_b32_e32 v97, v71
.LBB13_161:
	s_or_b64 exec, exec, s[14:15]
	v_cmp_eq_f32_e64 s[16:17], v87, v69
	v_cmp_lt_f32_e64 s[18:19], v68, v86
	v_cmp_lt_f32_e64 s[14:15], v87, v69
	s_and_b64 s[16:17], s[16:17], s[18:19]
	s_or_b64 s[14:15], s[14:15], s[16:17]
                                        ; implicit-def: $vgpr94_vgpr95
	s_and_saveexec_b64 s[16:17], s[14:15]
	s_xor_b64 s[14:15], exec, s[16:17]
; %bb.162:
	v_mov_b32_e32 v11, v36
	v_mov_b32_e32 v12, v19
	v_pk_mov_b32 v[0:1], v[8:9], v[8:9] op_sel:[0,1]
	v_pk_mov_b32 v[4:5], v[12:13], v[12:13] op_sel:[0,1]
	;; [unrolled: 1-line block ×4, first 2 shown]
	v_mov_b32_e32 v5, v21
	v_mov_b32_e32 v6, v18
	;; [unrolled: 1-line block ×3, first 2 shown]
	v_pk_mov_b32 v[94:95], v[68:69], v[68:69] op_sel:[0,1]
                                        ; implicit-def: $vgpr68
                                        ; implicit-def: $vgpr24_vgpr25_vgpr26_vgpr27_vgpr28_vgpr29_vgpr30_vgpr31
; %bb.163:
	s_andn2_saveexec_b64 s[14:15], s[14:15]
; %bb.164:
	v_pk_mov_b32 v[8:9], v[24:25], v[24:25] op_sel:[0,1]
	v_pk_mov_b32 v[94:95], v[86:87], v[86:87] op_sel:[0,1]
	;; [unrolled: 1-line block ×6, first 2 shown]
; %bb.165:
	s_or_b64 exec, exec, s[14:15]
	v_cmp_eq_f32_e64 s[16:17], v89, v17
	v_cmp_lt_f32_e64 s[18:19], v64, v88
	v_cmp_lt_f32_e64 s[14:15], v89, v17
	s_and_b64 s[16:17], s[16:17], s[18:19]
	v_mov_b32_e32 v85, v17
	s_or_b64 s[16:17], s[14:15], s[16:17]
	s_and_saveexec_b64 s[14:15], s[16:17]
	s_cbranch_execz .LBB13_167
; %bb.166:
	v_mov_b32_e32 v85, v89
	v_mov_b32_e32 v89, v65
	v_mov_b32_e32 v33, v17
	v_mov_b32_e32 v13, v18
	v_mov_b32_e32 v14, v21
	v_mov_b32_e32 v15, v23
	v_pk_mov_b32 v[0:1], v[8:9], v[8:9] op_sel:[0,1]
	v_pk_mov_b32 v[90:91], v[88:89], v[88:89] op_sel:[0,1]
	;; [unrolled: 1-line block ×6, first 2 shown]
.LBB13_167:
	s_or_b64 exec, exec, s[14:15]
	v_mov_b32_e32 v96, v83
.LBB13_168:
	s_or_b64 exec, exec, s[20:21]
	v_and_b32_e32 v9, 0xf0, v102
	v_min_i32_e32 v12, v100, v9
	v_add_u32_e32 v9, 8, v12
	v_min_i32_e32 v41, v100, v9
	v_add_u32_e32 v9, 8, v41
	v_and_b32_e32 v8, 8, v102
	v_min_i32_e32 v43, v100, v9
	s_movk_i32 s14, 0x808
	v_min_i32_e32 v8, v100, v8
	v_sub_u32_e32 v11, v43, v41
	v_lshlrev_b32_e32 v9, 3, v12
	v_mad_u32_u24 v42, v103, s14, v104
	v_sub_u32_e32 v10, v41, v12
	v_mad_u32_u24 v9, v103, s14, v9
	v_sub_u32_e32 v13, v8, v11
	v_cmp_ge_i32_e64 s[14:15], v8, v11
	v_cndmask_b32_e64 v13, 0, v13, s[14:15]
	v_min_i32_e32 v10, v8, v10
	v_mul_u32_u24_e32 v40, 0x808, v103
	v_cmp_lt_i32_e64 s[14:15], v13, v10
	; wave barrier
	ds_write2_b32 v42, v96, v97 offset0:1 offset1:2
	ds_write2_b32 v42, v92, v93 offset0:3 offset1:4
	;; [unrolled: 1-line block ×7, first 2 shown]
	ds_write2_b32 v42, v82, v105 offset1:15
	; wave barrier
	s_and_saveexec_b64 s[16:17], s[14:15]
	s_cbranch_execz .LBB13_182
; %bb.169:
	v_lshlrev_b32_e32 v11, 3, v41
	v_lshlrev_b32_e32 v14, 3, v8
	v_add3_u32 v11, v40, v11, v14
	s_mov_b64 s[18:19], 0
                                        ; implicit-def: $sgpr20_sgpr21
	s_branch .LBB13_172
.LBB13_170:                             ;   in Loop: Header=BB13_172 Depth=1
	s_or_b64 exec, exec, s[26:27]
	s_andn2_b64 s[14:15], s[20:21], exec
	s_and_b64 s[20:21], s[24:25], exec
	s_or_b64 s[20:21], s[14:15], s[20:21]
.LBB13_171:                             ;   in Loop: Header=BB13_172 Depth=1
	s_or_b64 exec, exec, s[22:23]
	v_add_u32_e32 v15, 1, v14
	v_cndmask_b32_e64 v10, v10, v14, s[20:21]
	v_cndmask_b32_e64 v13, v15, v13, s[20:21]
	v_cmp_ge_i32_e64 s[14:15], v13, v10
	s_or_b64 s[18:19], s[14:15], s[18:19]
	s_andn2_b64 exec, exec, s[18:19]
	s_cbranch_execz .LBB13_181
.LBB13_172:                             ; =>This Inner Loop Header: Depth=1
	v_sub_u32_e32 v14, v10, v13
	v_lshrrev_b32_e32 v15, 31, v14
	v_add_u32_e32 v14, v14, v15
	v_ashrrev_i32_e32 v14, 1, v14
	v_add_u32_e32 v14, v14, v13
	v_lshl_add_u32 v15, v14, 3, v9
	v_not_b32_e32 v16, v14
	v_lshl_add_u32 v16, v16, 3, v11
	ds_read_b32 v17, v15
	ds_read_b32 v18, v16
	s_or_b64 s[20:21], s[20:21], exec
	s_waitcnt lgkmcnt(0)
	v_cmp_nlt_f32_e64 s[14:15], v18, v17
	s_and_saveexec_b64 s[22:23], s[14:15]
	s_cbranch_execz .LBB13_171
; %bb.173:                              ;   in Loop: Header=BB13_172 Depth=1
	v_cmp_eq_f32_e64 s[14:15], v18, v17
	s_mov_b64 s[24:25], 0
	s_and_saveexec_b64 s[26:27], s[14:15]
	s_cbranch_execz .LBB13_170
; %bb.174:                              ;   in Loop: Header=BB13_172 Depth=1
	ds_read_b32 v16, v16 offset:4
	ds_read_b32 v15, v15 offset:4
	s_waitcnt lgkmcnt(0)
	v_cmp_lt_f32_e64 s[14:15], v16, v15
	s_and_b64 s[24:25], s[14:15], exec
	s_branch .LBB13_170
.LBB13_175:
	global_load_dword v71, v[80:81], off offset:4
	s_waitcnt vmcnt(0)
	v_pk_mov_b32 v[0:1], v[70:71], v[70:71] op_sel:[0,1]
	v_pk_mov_b32 v[40:41], v[70:71], v[70:71] op_sel:[0,1]
	;; [unrolled: 1-line block ×24, first 2 shown]
	s_or_b64 exec, exec, s[14:15]
                                        ; implicit-def: $vgpr64
	s_and_saveexec_b64 s[14:15], s[2:3]
	s_cbranch_execz .LBB13_20
.LBB13_176:
	global_load_dword v64, v[80:81], off offset:8
	v_pk_mov_b32 v[0:1], v[48:49], v[48:49] op_sel:[0,1]
	v_pk_mov_b32 v[2:3], v[50:51], v[50:51] op_sel:[0,1]
	;; [unrolled: 1-line block ×4, first 2 shown]
	s_waitcnt vmcnt(0)
	v_mov_b32_e32 v2, v64
	v_pk_mov_b32 v[46:47], v[6:7], v[6:7] op_sel:[0,1]
	v_pk_mov_b32 v[30:31], v[6:7], v[6:7] op_sel:[0,1]
	v_pk_mov_b32 v[38:39], v[6:7], v[6:7] op_sel:[0,1]
	v_pk_mov_b32 v[14:15], v[6:7], v[6:7] op_sel:[0,1]
	v_pk_mov_b32 v[44:45], v[4:5], v[4:5] op_sel:[0,1]
	v_pk_mov_b32 v[42:43], v[2:3], v[2:3] op_sel:[0,1]
	v_pk_mov_b32 v[40:41], v[0:1], v[0:1] op_sel:[0,1]
	v_pk_mov_b32 v[28:29], v[4:5], v[4:5] op_sel:[0,1]
	v_pk_mov_b32 v[26:27], v[2:3], v[2:3] op_sel:[0,1]
	v_pk_mov_b32 v[24:25], v[0:1], v[0:1] op_sel:[0,1]
	v_pk_mov_b32 v[36:37], v[4:5], v[4:5] op_sel:[0,1]
	v_pk_mov_b32 v[34:35], v[2:3], v[2:3] op_sel:[0,1]
	v_pk_mov_b32 v[32:33], v[0:1], v[0:1] op_sel:[0,1]
	v_pk_mov_b32 v[12:13], v[4:5], v[4:5] op_sel:[0,1]
	v_pk_mov_b32 v[10:11], v[2:3], v[2:3] op_sel:[0,1]
	v_pk_mov_b32 v[8:9], v[0:1], v[0:1] op_sel:[0,1]
	s_or_b64 exec, exec, s[14:15]
	s_and_saveexec_b64 s[14:15], s[4:5]
	s_cbranch_execz .LBB13_21
.LBB13_177:
	global_load_dword v65, v[80:81], off offset:12
	v_pk_mov_b32 v[0:1], v[8:9], v[8:9] op_sel:[0,1]
	v_pk_mov_b32 v[2:3], v[10:11], v[10:11] op_sel:[0,1]
	;; [unrolled: 1-line block ×4, first 2 shown]
	s_waitcnt vmcnt(0)
	v_mov_b32_e32 v3, v65
	v_pk_mov_b32 v[46:47], v[6:7], v[6:7] op_sel:[0,1]
	v_pk_mov_b32 v[30:31], v[6:7], v[6:7] op_sel:[0,1]
	;; [unrolled: 1-line block ×12, first 2 shown]
	s_or_b64 exec, exec, s[14:15]
	s_and_saveexec_b64 s[14:15], s[6:7]
	s_cbranch_execz .LBB13_22
.LBB13_178:
	global_load_dword v66, v[80:81], off offset:16
	v_pk_mov_b32 v[0:1], v[32:33], v[32:33] op_sel:[0,1]
	v_pk_mov_b32 v[4:5], v[36:37], v[36:37] op_sel:[0,1]
	;; [unrolled: 1-line block ×4, first 2 shown]
	s_waitcnt vmcnt(0)
	v_mov_b32_e32 v4, v66
	v_pk_mov_b32 v[46:47], v[6:7], v[6:7] op_sel:[0,1]
	v_pk_mov_b32 v[30:31], v[6:7], v[6:7] op_sel:[0,1]
	;; [unrolled: 1-line block ×8, first 2 shown]
	s_or_b64 exec, exec, s[14:15]
	s_and_saveexec_b64 s[14:15], s[8:9]
	s_cbranch_execz .LBB13_23
.LBB13_179:
	global_load_dword v67, v[80:81], off offset:20
	v_pk_mov_b32 v[0:1], v[24:25], v[24:25] op_sel:[0,1]
	v_pk_mov_b32 v[4:5], v[28:29], v[28:29] op_sel:[0,1]
	;; [unrolled: 1-line block ×4, first 2 shown]
	s_waitcnt vmcnt(0)
	v_mov_b32_e32 v5, v67
	v_pk_mov_b32 v[46:47], v[6:7], v[6:7] op_sel:[0,1]
	v_pk_mov_b32 v[44:45], v[4:5], v[4:5] op_sel:[0,1]
	;; [unrolled: 1-line block ×4, first 2 shown]
	s_or_b64 exec, exec, s[14:15]
	s_and_saveexec_b64 s[14:15], s[10:11]
	s_cbranch_execz .LBB13_24
.LBB13_180:
	global_load_dword v68, v[80:81], off offset:24
	v_pk_mov_b32 v[0:1], v[40:41], v[40:41] op_sel:[0,1]
	v_pk_mov_b32 v[6:7], v[46:47], v[46:47] op_sel:[0,1]
	;; [unrolled: 1-line block ×4, first 2 shown]
	s_waitcnt vmcnt(0)
	v_mov_b32_e32 v6, v68
	s_or_b64 exec, exec, s[14:15]
                                        ; implicit-def: $vgpr23
	s_and_saveexec_b64 s[14:15], s[12:13]
	s_cbranch_execnz .LBB13_25
	s_branch .LBB13_26
.LBB13_181:
	s_or_b64 exec, exec, s[18:19]
.LBB13_182:
	s_or_b64 exec, exec, s[16:17]
	v_add_u32_e32 v8, v41, v8
	v_sub_u32_e32 v44, v8, v13
	v_lshl_add_u32 v14, v13, 3, v9
	v_lshl_add_u32 v16, v44, 3, v40
	ds_read_b64 v[8:9], v14
	ds_read_b64 v[10:11], v16
	v_cmp_le_i32_e64 s[14:15], v43, v44
                                        ; implicit-def: $sgpr18_sgpr19
	s_and_saveexec_b64 s[16:17], s[14:15]
	s_xor_b64 s[14:15], exec, s[16:17]
; %bb.183:
	s_mov_b64 s[18:19], 0
; %bb.184:
	s_or_saveexec_b64 s[20:21], s[14:15]
	v_add_u32_e32 v45, v13, v12
	s_xor_b64 exec, exec, s[20:21]
	s_cbranch_execz .LBB13_190
; %bb.185:
	v_cmp_gt_i32_e64 s[14:15], v41, v45
	s_waitcnt lgkmcnt(0)
	v_cmp_nlt_f32_e64 s[16:17], v10, v8
	s_and_b64 s[22:23], s[14:15], s[16:17]
	s_mov_b64 s[14:15], -1
	s_and_saveexec_b64 s[16:17], s[22:23]
	s_cbranch_execz .LBB13_189
; %bb.186:
	v_cmp_eq_f32_e64 s[14:15], v10, v8
	s_mov_b64 s[22:23], 0
	s_and_saveexec_b64 s[24:25], s[14:15]
; %bb.187:
	v_cmp_lt_f32_e64 s[14:15], v11, v9
	s_and_b64 s[22:23], s[14:15], exec
; %bb.188:
	s_or_b64 exec, exec, s[24:25]
	s_orn2_b64 s[14:15], s[22:23], exec
.LBB13_189:
	s_or_b64 exec, exec, s[16:17]
	s_andn2_b64 s[16:17], s[18:19], exec
	s_and_b64 s[14:15], s[14:15], exec
	s_or_b64 s[18:19], s[16:17], s[14:15]
.LBB13_190:
	s_or_b64 exec, exec, s[20:21]
	s_xor_b64 s[14:15], s[18:19], -1
                                        ; implicit-def: $vgpr12_vgpr13
	s_and_saveexec_b64 s[16:17], s[14:15]
	s_xor_b64 s[14:15], exec, s[16:17]
	s_cbranch_execz .LBB13_192
; %bb.191:
	ds_read_b64 v[12:13], v14 offset:8
                                        ; implicit-def: $vgpr16
.LBB13_192:
	s_or_saveexec_b64 s[14:15], s[14:15]
	s_waitcnt lgkmcnt(0)
	v_pk_mov_b32 v[14:15], v[10:11], v[10:11] op_sel:[0,1]
	s_xor_b64 exec, exec, s[14:15]
	s_cbranch_execz .LBB13_194
; %bb.193:
	ds_read_b64 v[14:15], v16 offset:8
	v_pk_mov_b32 v[12:13], v[8:9], v[8:9] op_sel:[0,1]
.LBB13_194:
	s_or_b64 exec, exec, s[14:15]
	v_add_u32_e32 v16, 1, v44
	v_add_u32_e32 v17, 1, v45
	v_cndmask_b32_e64 v46, v44, v16, s[18:19]
	v_cndmask_b32_e64 v47, v17, v45, s[18:19]
	v_cmp_lt_i32_e64 s[14:15], v46, v43
	s_mov_b64 s[20:21], 0
	s_and_saveexec_b64 s[22:23], s[14:15]
	s_cbranch_execz .LBB13_200
; %bb.195:
	v_cmp_lt_i32_e64 s[14:15], v47, v41
	s_waitcnt lgkmcnt(0)
	v_cmp_nlt_f32_e64 s[16:17], v14, v12
	s_and_b64 s[20:21], s[14:15], s[16:17]
	s_mov_b64 s[14:15], -1
	s_and_saveexec_b64 s[16:17], s[20:21]
	s_cbranch_execz .LBB13_199
; %bb.196:
	v_cmp_eq_f32_e64 s[14:15], v14, v12
	s_mov_b64 s[20:21], 0
	s_and_saveexec_b64 s[24:25], s[14:15]
; %bb.197:
	v_cmp_lt_f32_e64 s[14:15], v15, v13
	s_and_b64 s[20:21], s[14:15], exec
; %bb.198:
	s_or_b64 exec, exec, s[24:25]
	s_orn2_b64 s[14:15], s[20:21], exec
.LBB13_199:
	s_or_b64 exec, exec, s[16:17]
	s_and_b64 s[20:21], s[14:15], exec
.LBB13_200:
	s_or_b64 exec, exec, s[22:23]
	s_xor_b64 s[14:15], s[20:21], -1
                                        ; implicit-def: $vgpr16_vgpr17
	s_and_saveexec_b64 s[16:17], s[14:15]
	s_xor_b64 s[14:15], exec, s[16:17]
	s_cbranch_execz .LBB13_202
; %bb.201:
	v_lshl_add_u32 v16, v47, 3, v40
	ds_read_b64 v[16:17], v16 offset:8
.LBB13_202:
	s_or_saveexec_b64 s[14:15], s[14:15]
	s_waitcnt lgkmcnt(0)
	v_pk_mov_b32 v[18:19], v[14:15], v[14:15] op_sel:[0,1]
	s_xor_b64 exec, exec, s[14:15]
	s_cbranch_execz .LBB13_204
; %bb.203:
	v_lshl_add_u32 v16, v46, 3, v40
	ds_read_b64 v[18:19], v16 offset:8
	v_pk_mov_b32 v[16:17], v[12:13], v[12:13] op_sel:[0,1]
.LBB13_204:
	s_or_b64 exec, exec, s[14:15]
	v_add_u32_e32 v21, 1, v46
	v_cndmask_b32_e64 v48, v46, v21, s[20:21]
	v_add_u32_e32 v20, 1, v47
	v_cmp_ge_i32_e64 s[14:15], v48, v43
                                        ; implicit-def: $sgpr22_sgpr23
	s_and_saveexec_b64 s[16:17], s[14:15]
	s_xor_b64 s[14:15], exec, s[16:17]
; %bb.205:
	s_mov_b64 s[22:23], 0
; %bb.206:
	s_or_saveexec_b64 s[24:25], s[14:15]
	v_cndmask_b32_e64 v49, v20, v47, s[20:21]
	s_xor_b64 exec, exec, s[24:25]
	s_cbranch_execz .LBB13_212
; %bb.207:
	v_cmp_lt_i32_e64 s[14:15], v49, v41
	s_waitcnt lgkmcnt(0)
	v_cmp_nlt_f32_e64 s[16:17], v18, v16
	s_and_b64 s[26:27], s[14:15], s[16:17]
	s_mov_b64 s[14:15], -1
	s_and_saveexec_b64 s[16:17], s[26:27]
	s_cbranch_execz .LBB13_211
; %bb.208:
	v_cmp_eq_f32_e64 s[14:15], v18, v16
	s_mov_b64 s[26:27], 0
	s_and_saveexec_b64 s[28:29], s[14:15]
; %bb.209:
	v_cmp_lt_f32_e64 s[14:15], v19, v17
	s_and_b64 s[26:27], s[14:15], exec
; %bb.210:
	s_or_b64 exec, exec, s[28:29]
	s_orn2_b64 s[14:15], s[26:27], exec
.LBB13_211:
	s_or_b64 exec, exec, s[16:17]
	s_andn2_b64 s[16:17], s[22:23], exec
	s_and_b64 s[14:15], s[14:15], exec
	s_or_b64 s[22:23], s[16:17], s[14:15]
.LBB13_212:
	s_or_b64 exec, exec, s[24:25]
	s_xor_b64 s[14:15], s[22:23], -1
                                        ; implicit-def: $vgpr20_vgpr21
	s_and_saveexec_b64 s[16:17], s[14:15]
	s_xor_b64 s[14:15], exec, s[16:17]
	s_cbranch_execz .LBB13_214
; %bb.213:
	v_lshl_add_u32 v20, v49, 3, v40
	ds_read_b64 v[20:21], v20 offset:8
.LBB13_214:
	s_or_saveexec_b64 s[14:15], s[14:15]
	s_waitcnt lgkmcnt(0)
	v_pk_mov_b32 v[22:23], v[18:19], v[18:19] op_sel:[0,1]
	s_xor_b64 exec, exec, s[14:15]
	s_cbranch_execz .LBB13_216
; %bb.215:
	v_lshl_add_u32 v20, v48, 3, v40
	ds_read_b64 v[22:23], v20 offset:8
	v_pk_mov_b32 v[20:21], v[16:17], v[16:17] op_sel:[0,1]
.LBB13_216:
	s_or_b64 exec, exec, s[14:15]
	v_add_u32_e32 v24, 1, v48
	v_add_u32_e32 v25, 1, v49
	v_cndmask_b32_e64 v50, v48, v24, s[22:23]
	v_cndmask_b32_e64 v51, v25, v49, s[22:23]
	v_cmp_lt_i32_e64 s[14:15], v50, v43
	s_mov_b64 s[24:25], 0
	s_and_saveexec_b64 s[26:27], s[14:15]
	s_cbranch_execz .LBB13_222
; %bb.217:
	v_cmp_lt_i32_e64 s[14:15], v51, v41
	s_waitcnt lgkmcnt(0)
	v_cmp_nlt_f32_e64 s[16:17], v22, v20
	s_and_b64 s[24:25], s[14:15], s[16:17]
	s_mov_b64 s[14:15], -1
	s_and_saveexec_b64 s[16:17], s[24:25]
	s_cbranch_execz .LBB13_221
; %bb.218:
	v_cmp_eq_f32_e64 s[14:15], v22, v20
	s_mov_b64 s[24:25], 0
	s_and_saveexec_b64 s[28:29], s[14:15]
; %bb.219:
	v_cmp_lt_f32_e64 s[14:15], v23, v21
	s_and_b64 s[24:25], s[14:15], exec
; %bb.220:
	s_or_b64 exec, exec, s[28:29]
	s_orn2_b64 s[14:15], s[24:25], exec
.LBB13_221:
	s_or_b64 exec, exec, s[16:17]
	s_and_b64 s[24:25], s[14:15], exec
.LBB13_222:
	s_or_b64 exec, exec, s[26:27]
	s_xor_b64 s[14:15], s[24:25], -1
                                        ; implicit-def: $vgpr24_vgpr25
	s_and_saveexec_b64 s[16:17], s[14:15]
	s_xor_b64 s[14:15], exec, s[16:17]
	s_cbranch_execz .LBB13_224
; %bb.223:
	v_lshl_add_u32 v24, v51, 3, v40
	ds_read_b64 v[24:25], v24 offset:8
.LBB13_224:
	s_or_saveexec_b64 s[14:15], s[14:15]
	s_waitcnt lgkmcnt(0)
	v_pk_mov_b32 v[26:27], v[22:23], v[22:23] op_sel:[0,1]
	s_xor_b64 exec, exec, s[14:15]
	s_cbranch_execz .LBB13_226
; %bb.225:
	v_lshl_add_u32 v24, v50, 3, v40
	ds_read_b64 v[26:27], v24 offset:8
	v_pk_mov_b32 v[24:25], v[20:21], v[20:21] op_sel:[0,1]
.LBB13_226:
	s_or_b64 exec, exec, s[14:15]
	v_add_u32_e32 v29, 1, v50
	v_cndmask_b32_e64 v52, v50, v29, s[24:25]
	v_add_u32_e32 v28, 1, v51
	v_cmp_ge_i32_e64 s[14:15], v52, v43
                                        ; implicit-def: $sgpr26_sgpr27
	s_and_saveexec_b64 s[16:17], s[14:15]
	s_xor_b64 s[14:15], exec, s[16:17]
; %bb.227:
	s_mov_b64 s[26:27], 0
; %bb.228:
	s_or_saveexec_b64 s[28:29], s[14:15]
	v_cndmask_b32_e64 v53, v28, v51, s[24:25]
	s_xor_b64 exec, exec, s[28:29]
	s_cbranch_execz .LBB13_234
; %bb.229:
	v_cmp_lt_i32_e64 s[14:15], v53, v41
	s_waitcnt lgkmcnt(0)
	v_cmp_nlt_f32_e64 s[16:17], v26, v24
	s_and_b64 s[30:31], s[14:15], s[16:17]
	s_mov_b64 s[14:15], -1
	s_and_saveexec_b64 s[16:17], s[30:31]
	s_cbranch_execz .LBB13_233
; %bb.230:
	v_cmp_eq_f32_e64 s[14:15], v26, v24
	s_mov_b64 s[30:31], 0
	s_and_saveexec_b64 s[34:35], s[14:15]
; %bb.231:
	v_cmp_lt_f32_e64 s[14:15], v27, v25
	s_and_b64 s[30:31], s[14:15], exec
; %bb.232:
	s_or_b64 exec, exec, s[34:35]
	s_orn2_b64 s[14:15], s[30:31], exec
.LBB13_233:
	s_or_b64 exec, exec, s[16:17]
	s_andn2_b64 s[16:17], s[26:27], exec
	s_and_b64 s[14:15], s[14:15], exec
	s_or_b64 s[26:27], s[16:17], s[14:15]
.LBB13_234:
	s_or_b64 exec, exec, s[28:29]
	s_xor_b64 s[14:15], s[26:27], -1
                                        ; implicit-def: $vgpr28_vgpr29
	s_and_saveexec_b64 s[16:17], s[14:15]
	s_xor_b64 s[14:15], exec, s[16:17]
	s_cbranch_execz .LBB13_236
; %bb.235:
	v_lshl_add_u32 v28, v53, 3, v40
	ds_read_b64 v[28:29], v28 offset:8
.LBB13_236:
	s_or_saveexec_b64 s[14:15], s[14:15]
	s_waitcnt lgkmcnt(0)
	v_pk_mov_b32 v[30:31], v[26:27], v[26:27] op_sel:[0,1]
	s_xor_b64 exec, exec, s[14:15]
	s_cbranch_execz .LBB13_238
; %bb.237:
	v_lshl_add_u32 v28, v52, 3, v40
	ds_read_b64 v[30:31], v28 offset:8
	v_pk_mov_b32 v[28:29], v[24:25], v[24:25] op_sel:[0,1]
.LBB13_238:
	s_or_b64 exec, exec, s[14:15]
	v_add_u32_e32 v32, 1, v52
	v_add_u32_e32 v33, 1, v53
	v_cndmask_b32_e64 v54, v52, v32, s[26:27]
	v_cndmask_b32_e64 v55, v33, v53, s[26:27]
	v_cmp_lt_i32_e64 s[14:15], v54, v43
	s_mov_b64 s[28:29], 0
	s_and_saveexec_b64 s[30:31], s[14:15]
	s_cbranch_execz .LBB13_244
; %bb.239:
	v_cmp_lt_i32_e64 s[14:15], v55, v41
	s_waitcnt lgkmcnt(0)
	v_cmp_nlt_f32_e64 s[16:17], v30, v28
	s_and_b64 s[28:29], s[14:15], s[16:17]
	s_mov_b64 s[14:15], -1
	s_and_saveexec_b64 s[16:17], s[28:29]
	s_cbranch_execz .LBB13_243
; %bb.240:
	v_cmp_eq_f32_e64 s[14:15], v30, v28
	s_mov_b64 s[28:29], 0
	s_and_saveexec_b64 s[34:35], s[14:15]
; %bb.241:
	v_cmp_lt_f32_e64 s[14:15], v31, v29
	s_and_b64 s[28:29], s[14:15], exec
; %bb.242:
	s_or_b64 exec, exec, s[34:35]
	s_orn2_b64 s[14:15], s[28:29], exec
.LBB13_243:
	s_or_b64 exec, exec, s[16:17]
	s_and_b64 s[28:29], s[14:15], exec
.LBB13_244:
	s_or_b64 exec, exec, s[30:31]
	s_xor_b64 s[14:15], s[28:29], -1
                                        ; implicit-def: $vgpr32_vgpr33
	s_and_saveexec_b64 s[16:17], s[14:15]
	s_xor_b64 s[14:15], exec, s[16:17]
	s_cbranch_execz .LBB13_246
; %bb.245:
	v_lshl_add_u32 v32, v55, 3, v40
	ds_read_b64 v[32:33], v32 offset:8
.LBB13_246:
	s_or_saveexec_b64 s[14:15], s[14:15]
	s_waitcnt lgkmcnt(0)
	v_pk_mov_b32 v[34:35], v[30:31], v[30:31] op_sel:[0,1]
	s_xor_b64 exec, exec, s[14:15]
	s_cbranch_execz .LBB13_248
; %bb.247:
	v_lshl_add_u32 v32, v54, 3, v40
	ds_read_b64 v[34:35], v32 offset:8
	v_pk_mov_b32 v[32:33], v[28:29], v[28:29] op_sel:[0,1]
.LBB13_248:
	s_or_b64 exec, exec, s[14:15]
	v_add_u32_e32 v37, 1, v54
	v_cndmask_b32_e64 v56, v54, v37, s[28:29]
	v_add_u32_e32 v36, 1, v55
	v_cmp_ge_i32_e64 s[14:15], v56, v43
                                        ; implicit-def: $sgpr30_sgpr31
	s_and_saveexec_b64 s[16:17], s[14:15]
	s_xor_b64 s[14:15], exec, s[16:17]
; %bb.249:
	s_mov_b64 s[30:31], 0
; %bb.250:
	s_or_saveexec_b64 s[34:35], s[14:15]
	v_cndmask_b32_e64 v57, v36, v55, s[28:29]
	s_xor_b64 exec, exec, s[34:35]
	s_cbranch_execz .LBB13_256
; %bb.251:
	v_cmp_lt_i32_e64 s[14:15], v57, v41
	s_waitcnt lgkmcnt(0)
	v_cmp_nlt_f32_e64 s[16:17], v34, v32
	s_and_b64 s[36:37], s[14:15], s[16:17]
	s_mov_b64 s[14:15], -1
	s_and_saveexec_b64 s[16:17], s[36:37]
	s_cbranch_execz .LBB13_255
; %bb.252:
	v_cmp_eq_f32_e64 s[14:15], v34, v32
	s_mov_b64 s[36:37], 0
	s_and_saveexec_b64 s[38:39], s[14:15]
; %bb.253:
	v_cmp_lt_f32_e64 s[14:15], v35, v33
	s_and_b64 s[36:37], s[14:15], exec
; %bb.254:
	s_or_b64 exec, exec, s[38:39]
	s_orn2_b64 s[14:15], s[36:37], exec
.LBB13_255:
	s_or_b64 exec, exec, s[16:17]
	s_andn2_b64 s[16:17], s[30:31], exec
	s_and_b64 s[14:15], s[14:15], exec
	s_or_b64 s[30:31], s[16:17], s[14:15]
.LBB13_256:
	s_or_b64 exec, exec, s[34:35]
	s_xor_b64 s[14:15], s[30:31], -1
                                        ; implicit-def: $vgpr36_vgpr37
	s_and_saveexec_b64 s[16:17], s[14:15]
	s_xor_b64 s[14:15], exec, s[16:17]
	s_cbranch_execz .LBB13_258
; %bb.257:
	v_lshl_add_u32 v36, v57, 3, v40
	ds_read_b64 v[36:37], v36 offset:8
.LBB13_258:
	s_or_saveexec_b64 s[14:15], s[14:15]
	s_waitcnt lgkmcnt(0)
	v_pk_mov_b32 v[38:39], v[34:35], v[34:35] op_sel:[0,1]
	s_xor_b64 exec, exec, s[14:15]
	s_cbranch_execz .LBB13_260
; %bb.259:
	v_lshl_add_u32 v36, v56, 3, v40
	ds_read_b64 v[38:39], v36 offset:8
	v_pk_mov_b32 v[36:37], v[32:33], v[32:33] op_sel:[0,1]
.LBB13_260:
	s_or_b64 exec, exec, s[14:15]
	v_add_u32_e32 v58, 1, v56
	v_add_u32_e32 v59, 1, v57
	v_cndmask_b32_e64 v58, v56, v58, s[30:31]
	v_cndmask_b32_e64 v59, v59, v57, s[30:31]
	v_cmp_lt_i32_e64 s[14:15], v58, v43
	s_mov_b64 s[16:17], 0
	s_and_saveexec_b64 s[34:35], s[14:15]
	s_cbranch_execz .LBB13_266
; %bb.261:
	v_cmp_lt_i32_e64 s[14:15], v59, v41
	s_waitcnt lgkmcnt(0)
	v_cmp_nlt_f32_e64 s[16:17], v38, v36
	s_and_b64 s[36:37], s[14:15], s[16:17]
	s_mov_b64 s[14:15], -1
	s_and_saveexec_b64 s[16:17], s[36:37]
	s_cbranch_execz .LBB13_265
; %bb.262:
	v_cmp_eq_f32_e64 s[14:15], v38, v36
	s_mov_b64 s[36:37], 0
	s_and_saveexec_b64 s[38:39], s[14:15]
; %bb.263:
	v_cmp_lt_f32_e64 s[14:15], v39, v37
	s_and_b64 s[36:37], s[14:15], exec
; %bb.264:
	s_or_b64 exec, exec, s[38:39]
	s_orn2_b64 s[14:15], s[36:37], exec
.LBB13_265:
	s_or_b64 exec, exec, s[16:17]
	s_and_b64 s[16:17], s[14:15], exec
.LBB13_266:
	s_or_b64 exec, exec, s[34:35]
	v_cndmask_b32_e64 v20, v20, v22, s[24:25]
	v_cndmask_b32_e64 v22, v51, v50, s[24:25]
	;; [unrolled: 1-line block ×8, first 2 shown]
	v_lshl_add_u32 v41, v101, 2, v40
	v_cndmask_b32_e64 v32, v32, v34, s[30:31]
	v_cndmask_b32_e64 v34, v57, v56, s[30:31]
	v_cndmask_b32_e64 v28, v28, v30, s[28:29]
	v_cndmask_b32_e64 v30, v55, v54, s[28:29]
	v_cndmask_b32_e64 v24, v24, v26, s[26:27]
	v_cndmask_b32_e64 v26, v53, v52, s[26:27]
	v_cndmask_b32_e64 v17, v17, v19, s[22:23]
	v_cndmask_b32_e64 v19, v59, v58, s[16:17]
	; wave barrier
	ds_write2_b64 v41, v[0:1], v[2:3] offset1:1
	ds_write2_b64 v41, v[4:5], v[6:7] offset0:2 offset1:3
	v_lshl_add_u32 v0, v15, 2, v40
	v_lshl_add_u32 v1, v14, 2, v40
	;; [unrolled: 1-line block ×4, first 2 shown]
	v_cndmask_b32_e64 v8, v8, v10, s[18:19]
	v_cndmask_b32_e64 v9, v9, v11, s[18:19]
	; wave barrier
	v_lshl_add_u32 v14, v26, 2, v40
	v_lshl_add_u32 v15, v30, 2, v40
	;; [unrolled: 1-line block ×4, first 2 shown]
	ds_read_b32 v2, v0
	ds_read_b32 v3, v1
	;; [unrolled: 1-line block ×8, first 2 shown]
	v_cndmask_b32_e64 v33, v33, v35, s[30:31]
	v_cndmask_b32_e64 v29, v29, v31, s[28:29]
	;; [unrolled: 1-line block ×4, first 2 shown]
	s_waitcnt lgkmcnt(10)
	v_cndmask_b32_e64 v11, v37, v39, s[16:17]
	v_cndmask_b32_e64 v10, v36, v38, s[16:17]
	; wave barrier
	ds_write2_b64 v42, v[8:9], v[12:13] offset1:1
	ds_write2_b64 v42, v[16:17], v[20:21] offset0:2 offset1:3
	ds_write2_b64 v42, v[24:25], v[28:29] offset0:4 offset1:5
	;; [unrolled: 1-line block ×3, first 2 shown]
	v_and_b32_e32 v9, 0xe0, v102
	v_min_i32_e32 v12, v100, v9
	v_add_u32_e32 v9, 16, v12
	v_min_i32_e32 v43, v100, v9
	v_add_u32_e32 v9, 16, v43
	v_and_b32_e32 v8, 24, v102
	v_min_i32_e32 v44, v100, v9
	v_min_i32_e32 v8, v100, v8
	v_sub_u32_e32 v11, v44, v43
	v_sub_u32_e32 v10, v43, v12
	;; [unrolled: 1-line block ×3, first 2 shown]
	v_cmp_ge_i32_e64 s[14:15], v8, v11
	v_cndmask_b32_e64 v13, 0, v13, s[14:15]
	v_min_i32_e32 v10, v8, v10
	v_lshl_add_u32 v9, v12, 3, v40
	v_cmp_lt_i32_e64 s[14:15], v13, v10
	; wave barrier
	s_and_saveexec_b64 s[16:17], s[14:15]
	s_cbranch_execz .LBB13_274
; %bb.267:
	v_lshlrev_b32_e32 v11, 3, v43
	v_lshlrev_b32_e32 v14, 3, v8
	v_add3_u32 v11, v40, v11, v14
	s_mov_b64 s[18:19], 0
                                        ; implicit-def: $sgpr20_sgpr21
	s_branch .LBB13_270
.LBB13_268:                             ;   in Loop: Header=BB13_270 Depth=1
	s_or_b64 exec, exec, s[26:27]
	s_andn2_b64 s[14:15], s[20:21], exec
	s_and_b64 s[20:21], s[24:25], exec
	s_or_b64 s[20:21], s[14:15], s[20:21]
.LBB13_269:                             ;   in Loop: Header=BB13_270 Depth=1
	s_or_b64 exec, exec, s[22:23]
	v_add_u32_e32 v15, 1, v14
	v_cndmask_b32_e64 v10, v10, v14, s[20:21]
	v_cndmask_b32_e64 v13, v15, v13, s[20:21]
	v_cmp_ge_i32_e64 s[14:15], v13, v10
	s_or_b64 s[18:19], s[14:15], s[18:19]
	s_andn2_b64 exec, exec, s[18:19]
	s_cbranch_execz .LBB13_273
.LBB13_270:                             ; =>This Inner Loop Header: Depth=1
	v_sub_u32_e32 v14, v10, v13
	v_lshrrev_b32_e32 v15, 31, v14
	v_add_u32_e32 v14, v14, v15
	v_ashrrev_i32_e32 v14, 1, v14
	v_add_u32_e32 v14, v14, v13
	v_lshl_add_u32 v15, v14, 3, v9
	v_not_b32_e32 v16, v14
	v_lshl_add_u32 v16, v16, 3, v11
	ds_read_b32 v17, v15
	ds_read_b32 v18, v16
	s_or_b64 s[20:21], s[20:21], exec
	s_waitcnt lgkmcnt(0)
	v_cmp_nlt_f32_e64 s[14:15], v18, v17
	s_and_saveexec_b64 s[22:23], s[14:15]
	s_cbranch_execz .LBB13_269
; %bb.271:                              ;   in Loop: Header=BB13_270 Depth=1
	v_cmp_eq_f32_e64 s[14:15], v18, v17
	s_mov_b64 s[24:25], 0
	s_and_saveexec_b64 s[26:27], s[14:15]
	s_cbranch_execz .LBB13_268
; %bb.272:                              ;   in Loop: Header=BB13_270 Depth=1
	ds_read_b32 v16, v16 offset:4
	ds_read_b32 v15, v15 offset:4
	s_waitcnt lgkmcnt(0)
	v_cmp_lt_f32_e64 s[14:15], v16, v15
	s_and_b64 s[24:25], s[14:15], exec
	s_branch .LBB13_268
.LBB13_273:
	s_or_b64 exec, exec, s[18:19]
.LBB13_274:
	s_or_b64 exec, exec, s[16:17]
	v_add_u32_e32 v8, v43, v8
	v_sub_u32_e32 v45, v8, v13
	v_lshl_add_u32 v14, v13, 3, v9
	v_lshl_add_u32 v16, v45, 3, v40
	ds_read_b64 v[8:9], v14
	ds_read_b64 v[10:11], v16
	v_cmp_le_i32_e64 s[14:15], v44, v45
                                        ; implicit-def: $sgpr18_sgpr19
	s_and_saveexec_b64 s[16:17], s[14:15]
	s_xor_b64 s[14:15], exec, s[16:17]
; %bb.275:
	s_mov_b64 s[18:19], 0
; %bb.276:
	s_or_saveexec_b64 s[20:21], s[14:15]
	v_add_u32_e32 v46, v13, v12
	s_xor_b64 exec, exec, s[20:21]
	s_cbranch_execz .LBB13_282
; %bb.277:
	v_cmp_gt_i32_e64 s[14:15], v43, v46
	s_waitcnt lgkmcnt(0)
	v_cmp_nlt_f32_e64 s[16:17], v10, v8
	s_and_b64 s[22:23], s[14:15], s[16:17]
	s_mov_b64 s[14:15], -1
	s_and_saveexec_b64 s[16:17], s[22:23]
	s_cbranch_execz .LBB13_281
; %bb.278:
	v_cmp_eq_f32_e64 s[14:15], v10, v8
	s_mov_b64 s[22:23], 0
	s_and_saveexec_b64 s[24:25], s[14:15]
; %bb.279:
	v_cmp_lt_f32_e64 s[14:15], v11, v9
	s_and_b64 s[22:23], s[14:15], exec
; %bb.280:
	s_or_b64 exec, exec, s[24:25]
	s_orn2_b64 s[14:15], s[22:23], exec
.LBB13_281:
	s_or_b64 exec, exec, s[16:17]
	s_andn2_b64 s[16:17], s[18:19], exec
	s_and_b64 s[14:15], s[14:15], exec
	s_or_b64 s[18:19], s[16:17], s[14:15]
.LBB13_282:
	s_or_b64 exec, exec, s[20:21]
	s_xor_b64 s[14:15], s[18:19], -1
                                        ; implicit-def: $vgpr12_vgpr13
	s_and_saveexec_b64 s[16:17], s[14:15]
	s_xor_b64 s[14:15], exec, s[16:17]
	s_cbranch_execz .LBB13_284
; %bb.283:
	ds_read_b64 v[12:13], v14 offset:8
                                        ; implicit-def: $vgpr16
.LBB13_284:
	s_or_saveexec_b64 s[14:15], s[14:15]
	s_waitcnt lgkmcnt(0)
	v_pk_mov_b32 v[14:15], v[10:11], v[10:11] op_sel:[0,1]
	s_xor_b64 exec, exec, s[14:15]
	s_cbranch_execz .LBB13_286
; %bb.285:
	ds_read_b64 v[14:15], v16 offset:8
	v_pk_mov_b32 v[12:13], v[8:9], v[8:9] op_sel:[0,1]
.LBB13_286:
	s_or_b64 exec, exec, s[14:15]
	v_add_u32_e32 v16, 1, v45
	v_add_u32_e32 v17, 1, v46
	v_cndmask_b32_e64 v47, v45, v16, s[18:19]
	v_cndmask_b32_e64 v48, v17, v46, s[18:19]
	v_cmp_lt_i32_e64 s[14:15], v47, v44
	s_mov_b64 s[20:21], 0
	s_and_saveexec_b64 s[22:23], s[14:15]
	s_cbranch_execz .LBB13_292
; %bb.287:
	v_cmp_lt_i32_e64 s[14:15], v48, v43
	s_waitcnt lgkmcnt(0)
	v_cmp_nlt_f32_e64 s[16:17], v14, v12
	s_and_b64 s[20:21], s[14:15], s[16:17]
	s_mov_b64 s[14:15], -1
	s_and_saveexec_b64 s[16:17], s[20:21]
	s_cbranch_execz .LBB13_291
; %bb.288:
	v_cmp_eq_f32_e64 s[14:15], v14, v12
	s_mov_b64 s[20:21], 0
	s_and_saveexec_b64 s[24:25], s[14:15]
; %bb.289:
	v_cmp_lt_f32_e64 s[14:15], v15, v13
	s_and_b64 s[20:21], s[14:15], exec
; %bb.290:
	s_or_b64 exec, exec, s[24:25]
	s_orn2_b64 s[14:15], s[20:21], exec
.LBB13_291:
	s_or_b64 exec, exec, s[16:17]
	s_and_b64 s[20:21], s[14:15], exec
.LBB13_292:
	s_or_b64 exec, exec, s[22:23]
	s_xor_b64 s[14:15], s[20:21], -1
                                        ; implicit-def: $vgpr16_vgpr17
	s_and_saveexec_b64 s[16:17], s[14:15]
	s_xor_b64 s[14:15], exec, s[16:17]
	s_cbranch_execz .LBB13_294
; %bb.293:
	v_lshl_add_u32 v16, v48, 3, v40
	ds_read_b64 v[16:17], v16 offset:8
.LBB13_294:
	s_or_saveexec_b64 s[14:15], s[14:15]
	s_waitcnt lgkmcnt(0)
	v_pk_mov_b32 v[18:19], v[14:15], v[14:15] op_sel:[0,1]
	s_xor_b64 exec, exec, s[14:15]
	s_cbranch_execz .LBB13_296
; %bb.295:
	v_lshl_add_u32 v16, v47, 3, v40
	ds_read_b64 v[18:19], v16 offset:8
	v_pk_mov_b32 v[16:17], v[12:13], v[12:13] op_sel:[0,1]
.LBB13_296:
	s_or_b64 exec, exec, s[14:15]
	v_add_u32_e32 v21, 1, v47
	v_cndmask_b32_e64 v49, v47, v21, s[20:21]
	v_add_u32_e32 v20, 1, v48
	v_cmp_ge_i32_e64 s[14:15], v49, v44
                                        ; implicit-def: $sgpr22_sgpr23
	s_and_saveexec_b64 s[16:17], s[14:15]
	s_xor_b64 s[14:15], exec, s[16:17]
; %bb.297:
	s_mov_b64 s[22:23], 0
; %bb.298:
	s_or_saveexec_b64 s[24:25], s[14:15]
	v_cndmask_b32_e64 v50, v20, v48, s[20:21]
	s_xor_b64 exec, exec, s[24:25]
	s_cbranch_execz .LBB13_304
; %bb.299:
	v_cmp_lt_i32_e64 s[14:15], v50, v43
	s_waitcnt lgkmcnt(0)
	v_cmp_nlt_f32_e64 s[16:17], v18, v16
	s_and_b64 s[26:27], s[14:15], s[16:17]
	s_mov_b64 s[14:15], -1
	s_and_saveexec_b64 s[16:17], s[26:27]
	s_cbranch_execz .LBB13_303
; %bb.300:
	v_cmp_eq_f32_e64 s[14:15], v18, v16
	s_mov_b64 s[26:27], 0
	s_and_saveexec_b64 s[28:29], s[14:15]
; %bb.301:
	v_cmp_lt_f32_e64 s[14:15], v19, v17
	s_and_b64 s[26:27], s[14:15], exec
; %bb.302:
	s_or_b64 exec, exec, s[28:29]
	s_orn2_b64 s[14:15], s[26:27], exec
.LBB13_303:
	s_or_b64 exec, exec, s[16:17]
	s_andn2_b64 s[16:17], s[22:23], exec
	s_and_b64 s[14:15], s[14:15], exec
	s_or_b64 s[22:23], s[16:17], s[14:15]
.LBB13_304:
	s_or_b64 exec, exec, s[24:25]
	s_xor_b64 s[14:15], s[22:23], -1
                                        ; implicit-def: $vgpr20_vgpr21
	s_and_saveexec_b64 s[16:17], s[14:15]
	s_xor_b64 s[14:15], exec, s[16:17]
	s_cbranch_execz .LBB13_306
; %bb.305:
	v_lshl_add_u32 v20, v50, 3, v40
	ds_read_b64 v[20:21], v20 offset:8
.LBB13_306:
	s_or_saveexec_b64 s[14:15], s[14:15]
	s_waitcnt lgkmcnt(0)
	v_pk_mov_b32 v[22:23], v[18:19], v[18:19] op_sel:[0,1]
	s_xor_b64 exec, exec, s[14:15]
	s_cbranch_execz .LBB13_308
; %bb.307:
	v_lshl_add_u32 v20, v49, 3, v40
	ds_read_b64 v[22:23], v20 offset:8
	v_pk_mov_b32 v[20:21], v[16:17], v[16:17] op_sel:[0,1]
.LBB13_308:
	s_or_b64 exec, exec, s[14:15]
	v_add_u32_e32 v24, 1, v49
	v_add_u32_e32 v25, 1, v50
	v_cndmask_b32_e64 v51, v49, v24, s[22:23]
	v_cndmask_b32_e64 v52, v25, v50, s[22:23]
	v_cmp_lt_i32_e64 s[14:15], v51, v44
	s_mov_b64 s[24:25], 0
	s_and_saveexec_b64 s[26:27], s[14:15]
	s_cbranch_execz .LBB13_314
; %bb.309:
	v_cmp_lt_i32_e64 s[14:15], v52, v43
	s_waitcnt lgkmcnt(0)
	v_cmp_nlt_f32_e64 s[16:17], v22, v20
	s_and_b64 s[24:25], s[14:15], s[16:17]
	s_mov_b64 s[14:15], -1
	s_and_saveexec_b64 s[16:17], s[24:25]
	s_cbranch_execz .LBB13_313
; %bb.310:
	v_cmp_eq_f32_e64 s[14:15], v22, v20
	s_mov_b64 s[24:25], 0
	s_and_saveexec_b64 s[28:29], s[14:15]
; %bb.311:
	v_cmp_lt_f32_e64 s[14:15], v23, v21
	s_and_b64 s[24:25], s[14:15], exec
; %bb.312:
	s_or_b64 exec, exec, s[28:29]
	s_orn2_b64 s[14:15], s[24:25], exec
.LBB13_313:
	s_or_b64 exec, exec, s[16:17]
	s_and_b64 s[24:25], s[14:15], exec
.LBB13_314:
	s_or_b64 exec, exec, s[26:27]
	s_xor_b64 s[14:15], s[24:25], -1
                                        ; implicit-def: $vgpr24_vgpr25
	s_and_saveexec_b64 s[16:17], s[14:15]
	s_xor_b64 s[14:15], exec, s[16:17]
	s_cbranch_execz .LBB13_316
; %bb.315:
	v_lshl_add_u32 v24, v52, 3, v40
	ds_read_b64 v[24:25], v24 offset:8
.LBB13_316:
	s_or_saveexec_b64 s[14:15], s[14:15]
	s_waitcnt lgkmcnt(0)
	v_pk_mov_b32 v[26:27], v[22:23], v[22:23] op_sel:[0,1]
	s_xor_b64 exec, exec, s[14:15]
	s_cbranch_execz .LBB13_318
; %bb.317:
	v_lshl_add_u32 v24, v51, 3, v40
	ds_read_b64 v[26:27], v24 offset:8
	v_pk_mov_b32 v[24:25], v[20:21], v[20:21] op_sel:[0,1]
.LBB13_318:
	s_or_b64 exec, exec, s[14:15]
	v_add_u32_e32 v29, 1, v51
	v_cndmask_b32_e64 v53, v51, v29, s[24:25]
	v_add_u32_e32 v28, 1, v52
	v_cmp_ge_i32_e64 s[14:15], v53, v44
                                        ; implicit-def: $sgpr26_sgpr27
	s_and_saveexec_b64 s[16:17], s[14:15]
	s_xor_b64 s[14:15], exec, s[16:17]
; %bb.319:
	s_mov_b64 s[26:27], 0
; %bb.320:
	s_or_saveexec_b64 s[28:29], s[14:15]
	v_cndmask_b32_e64 v54, v28, v52, s[24:25]
	s_xor_b64 exec, exec, s[28:29]
	s_cbranch_execz .LBB13_326
; %bb.321:
	v_cmp_lt_i32_e64 s[14:15], v54, v43
	s_waitcnt lgkmcnt(0)
	v_cmp_nlt_f32_e64 s[16:17], v26, v24
	s_and_b64 s[30:31], s[14:15], s[16:17]
	s_mov_b64 s[14:15], -1
	s_and_saveexec_b64 s[16:17], s[30:31]
	s_cbranch_execz .LBB13_325
; %bb.322:
	v_cmp_eq_f32_e64 s[14:15], v26, v24
	s_mov_b64 s[30:31], 0
	s_and_saveexec_b64 s[34:35], s[14:15]
; %bb.323:
	v_cmp_lt_f32_e64 s[14:15], v27, v25
	s_and_b64 s[30:31], s[14:15], exec
; %bb.324:
	s_or_b64 exec, exec, s[34:35]
	s_orn2_b64 s[14:15], s[30:31], exec
.LBB13_325:
	s_or_b64 exec, exec, s[16:17]
	s_andn2_b64 s[16:17], s[26:27], exec
	s_and_b64 s[14:15], s[14:15], exec
	s_or_b64 s[26:27], s[16:17], s[14:15]
.LBB13_326:
	s_or_b64 exec, exec, s[28:29]
	s_xor_b64 s[14:15], s[26:27], -1
                                        ; implicit-def: $vgpr28_vgpr29
	s_and_saveexec_b64 s[16:17], s[14:15]
	s_xor_b64 s[14:15], exec, s[16:17]
	s_cbranch_execz .LBB13_328
; %bb.327:
	v_lshl_add_u32 v28, v54, 3, v40
	ds_read_b64 v[28:29], v28 offset:8
.LBB13_328:
	s_or_saveexec_b64 s[14:15], s[14:15]
	s_waitcnt lgkmcnt(0)
	v_pk_mov_b32 v[30:31], v[26:27], v[26:27] op_sel:[0,1]
	s_xor_b64 exec, exec, s[14:15]
	s_cbranch_execz .LBB13_330
; %bb.329:
	v_lshl_add_u32 v28, v53, 3, v40
	ds_read_b64 v[30:31], v28 offset:8
	v_pk_mov_b32 v[28:29], v[24:25], v[24:25] op_sel:[0,1]
.LBB13_330:
	s_or_b64 exec, exec, s[14:15]
	v_add_u32_e32 v32, 1, v53
	v_add_u32_e32 v33, 1, v54
	v_cndmask_b32_e64 v55, v53, v32, s[26:27]
	v_cndmask_b32_e64 v56, v33, v54, s[26:27]
	v_cmp_lt_i32_e64 s[14:15], v55, v44
	s_mov_b64 s[28:29], 0
	s_and_saveexec_b64 s[30:31], s[14:15]
	s_cbranch_execz .LBB13_336
; %bb.331:
	v_cmp_lt_i32_e64 s[14:15], v56, v43
	s_waitcnt lgkmcnt(0)
	v_cmp_nlt_f32_e64 s[16:17], v30, v28
	s_and_b64 s[28:29], s[14:15], s[16:17]
	s_mov_b64 s[14:15], -1
	s_and_saveexec_b64 s[16:17], s[28:29]
	s_cbranch_execz .LBB13_335
; %bb.332:
	v_cmp_eq_f32_e64 s[14:15], v30, v28
	s_mov_b64 s[28:29], 0
	s_and_saveexec_b64 s[34:35], s[14:15]
; %bb.333:
	v_cmp_lt_f32_e64 s[14:15], v31, v29
	s_and_b64 s[28:29], s[14:15], exec
; %bb.334:
	s_or_b64 exec, exec, s[34:35]
	s_orn2_b64 s[14:15], s[28:29], exec
.LBB13_335:
	s_or_b64 exec, exec, s[16:17]
	s_and_b64 s[28:29], s[14:15], exec
.LBB13_336:
	s_or_b64 exec, exec, s[30:31]
	s_xor_b64 s[14:15], s[28:29], -1
                                        ; implicit-def: $vgpr32_vgpr33
	s_and_saveexec_b64 s[16:17], s[14:15]
	s_xor_b64 s[14:15], exec, s[16:17]
	s_cbranch_execz .LBB13_338
; %bb.337:
	v_lshl_add_u32 v32, v56, 3, v40
	ds_read_b64 v[32:33], v32 offset:8
.LBB13_338:
	s_or_saveexec_b64 s[14:15], s[14:15]
	s_waitcnt lgkmcnt(0)
	v_pk_mov_b32 v[34:35], v[30:31], v[30:31] op_sel:[0,1]
	s_xor_b64 exec, exec, s[14:15]
	s_cbranch_execz .LBB13_340
; %bb.339:
	v_lshl_add_u32 v32, v55, 3, v40
	ds_read_b64 v[34:35], v32 offset:8
	v_pk_mov_b32 v[32:33], v[28:29], v[28:29] op_sel:[0,1]
.LBB13_340:
	s_or_b64 exec, exec, s[14:15]
	v_add_u32_e32 v37, 1, v55
	v_cndmask_b32_e64 v57, v55, v37, s[28:29]
	v_add_u32_e32 v36, 1, v56
	v_cmp_ge_i32_e64 s[14:15], v57, v44
                                        ; implicit-def: $sgpr30_sgpr31
	s_and_saveexec_b64 s[16:17], s[14:15]
	s_xor_b64 s[14:15], exec, s[16:17]
; %bb.341:
	s_mov_b64 s[30:31], 0
; %bb.342:
	s_or_saveexec_b64 s[34:35], s[14:15]
	v_cndmask_b32_e64 v58, v36, v56, s[28:29]
	s_xor_b64 exec, exec, s[34:35]
	s_cbranch_execz .LBB13_348
; %bb.343:
	v_cmp_lt_i32_e64 s[14:15], v58, v43
	s_waitcnt lgkmcnt(0)
	v_cmp_nlt_f32_e64 s[16:17], v34, v32
	s_and_b64 s[36:37], s[14:15], s[16:17]
	s_mov_b64 s[14:15], -1
	s_and_saveexec_b64 s[16:17], s[36:37]
	s_cbranch_execz .LBB13_347
; %bb.344:
	v_cmp_eq_f32_e64 s[14:15], v34, v32
	s_mov_b64 s[36:37], 0
	s_and_saveexec_b64 s[38:39], s[14:15]
; %bb.345:
	v_cmp_lt_f32_e64 s[14:15], v35, v33
	s_and_b64 s[36:37], s[14:15], exec
; %bb.346:
	s_or_b64 exec, exec, s[38:39]
	s_orn2_b64 s[14:15], s[36:37], exec
.LBB13_347:
	s_or_b64 exec, exec, s[16:17]
	s_andn2_b64 s[16:17], s[30:31], exec
	s_and_b64 s[14:15], s[14:15], exec
	s_or_b64 s[30:31], s[16:17], s[14:15]
.LBB13_348:
	s_or_b64 exec, exec, s[34:35]
	s_xor_b64 s[14:15], s[30:31], -1
                                        ; implicit-def: $vgpr36_vgpr37
	s_and_saveexec_b64 s[16:17], s[14:15]
	s_xor_b64 s[14:15], exec, s[16:17]
	s_cbranch_execz .LBB13_350
; %bb.349:
	v_lshl_add_u32 v36, v58, 3, v40
	ds_read_b64 v[36:37], v36 offset:8
.LBB13_350:
	s_or_saveexec_b64 s[14:15], s[14:15]
	s_waitcnt lgkmcnt(0)
	v_pk_mov_b32 v[38:39], v[34:35], v[34:35] op_sel:[0,1]
	s_xor_b64 exec, exec, s[14:15]
	s_cbranch_execz .LBB13_352
; %bb.351:
	v_lshl_add_u32 v36, v57, 3, v40
	ds_read_b64 v[38:39], v36 offset:8
	v_pk_mov_b32 v[36:37], v[32:33], v[32:33] op_sel:[0,1]
.LBB13_352:
	s_or_b64 exec, exec, s[14:15]
	v_add_u32_e32 v59, 1, v57
	v_add_u32_e32 v60, 1, v58
	v_cndmask_b32_e64 v59, v57, v59, s[30:31]
	v_cndmask_b32_e64 v60, v60, v58, s[30:31]
	v_cmp_lt_i32_e64 s[14:15], v59, v44
	s_mov_b64 s[16:17], 0
	s_and_saveexec_b64 s[34:35], s[14:15]
	s_cbranch_execz .LBB13_358
; %bb.353:
	v_cmp_lt_i32_e64 s[14:15], v60, v43
	s_waitcnt lgkmcnt(0)
	v_cmp_nlt_f32_e64 s[16:17], v38, v36
	s_and_b64 s[36:37], s[14:15], s[16:17]
	s_mov_b64 s[14:15], -1
	s_and_saveexec_b64 s[16:17], s[36:37]
	s_cbranch_execz .LBB13_357
; %bb.354:
	v_cmp_eq_f32_e64 s[14:15], v38, v36
	s_mov_b64 s[36:37], 0
	s_and_saveexec_b64 s[38:39], s[14:15]
; %bb.355:
	v_cmp_lt_f32_e64 s[14:15], v39, v37
	s_and_b64 s[36:37], s[14:15], exec
; %bb.356:
	s_or_b64 exec, exec, s[38:39]
	s_orn2_b64 s[14:15], s[36:37], exec
.LBB13_357:
	s_or_b64 exec, exec, s[16:17]
	s_and_b64 s[16:17], s[14:15], exec
.LBB13_358:
	s_or_b64 exec, exec, s[34:35]
	v_cndmask_b32_e64 v20, v20, v22, s[24:25]
	v_cndmask_b32_e64 v22, v52, v51, s[24:25]
	;; [unrolled: 1-line block ×16, first 2 shown]
	; wave barrier
	ds_write2_b64 v41, v[2:3], v[6:7] offset1:1
	ds_write2_b64 v41, v[0:1], v[4:5] offset0:2 offset1:3
	v_lshl_add_u32 v0, v15, 2, v40
	v_lshl_add_u32 v1, v14, 2, v40
	;; [unrolled: 1-line block ×4, first 2 shown]
	v_cndmask_b32_e64 v8, v8, v10, s[18:19]
	v_cndmask_b32_e64 v9, v9, v11, s[18:19]
	; wave barrier
	v_lshl_add_u32 v14, v26, 2, v40
	v_lshl_add_u32 v15, v30, 2, v40
	;; [unrolled: 1-line block ×4, first 2 shown]
	ds_read_b32 v2, v0
	ds_read_b32 v3, v1
	;; [unrolled: 1-line block ×8, first 2 shown]
	v_cndmask_b32_e64 v33, v33, v35, s[30:31]
	v_cndmask_b32_e64 v29, v29, v31, s[28:29]
	;; [unrolled: 1-line block ×4, first 2 shown]
	s_waitcnt lgkmcnt(10)
	v_cndmask_b32_e64 v11, v37, v39, s[16:17]
	v_cndmask_b32_e64 v10, v36, v38, s[16:17]
	; wave barrier
	ds_write2_b64 v42, v[8:9], v[12:13] offset1:1
	ds_write2_b64 v42, v[16:17], v[20:21] offset0:2 offset1:3
	ds_write2_b64 v42, v[24:25], v[28:29] offset0:4 offset1:5
	;; [unrolled: 1-line block ×3, first 2 shown]
	v_and_b32_e32 v9, 0xc0, v102
	v_min_i32_e32 v12, v100, v9
	v_add_u32_e32 v9, 32, v12
	v_min_i32_e32 v43, v100, v9
	v_add_u32_e32 v9, 32, v43
	v_and_b32_e32 v8, 56, v102
	v_min_i32_e32 v44, v100, v9
	v_min_i32_e32 v8, v100, v8
	v_sub_u32_e32 v11, v44, v43
	v_sub_u32_e32 v10, v43, v12
	;; [unrolled: 1-line block ×3, first 2 shown]
	v_cmp_ge_i32_e64 s[14:15], v8, v11
	v_cndmask_b32_e64 v13, 0, v13, s[14:15]
	v_min_i32_e32 v10, v8, v10
	v_lshl_add_u32 v9, v12, 3, v40
	v_cmp_lt_i32_e64 s[14:15], v13, v10
	; wave barrier
	s_and_saveexec_b64 s[16:17], s[14:15]
	s_cbranch_execz .LBB13_366
; %bb.359:
	v_lshlrev_b32_e32 v11, 3, v43
	v_lshlrev_b32_e32 v14, 3, v8
	v_add3_u32 v11, v40, v11, v14
	s_mov_b64 s[18:19], 0
                                        ; implicit-def: $sgpr20_sgpr21
	s_branch .LBB13_362
.LBB13_360:                             ;   in Loop: Header=BB13_362 Depth=1
	s_or_b64 exec, exec, s[26:27]
	s_andn2_b64 s[14:15], s[20:21], exec
	s_and_b64 s[20:21], s[24:25], exec
	s_or_b64 s[20:21], s[14:15], s[20:21]
.LBB13_361:                             ;   in Loop: Header=BB13_362 Depth=1
	s_or_b64 exec, exec, s[22:23]
	v_add_u32_e32 v15, 1, v14
	v_cndmask_b32_e64 v10, v10, v14, s[20:21]
	v_cndmask_b32_e64 v13, v15, v13, s[20:21]
	v_cmp_ge_i32_e64 s[14:15], v13, v10
	s_or_b64 s[18:19], s[14:15], s[18:19]
	s_andn2_b64 exec, exec, s[18:19]
	s_cbranch_execz .LBB13_365
.LBB13_362:                             ; =>This Inner Loop Header: Depth=1
	v_sub_u32_e32 v14, v10, v13
	v_lshrrev_b32_e32 v15, 31, v14
	v_add_u32_e32 v14, v14, v15
	v_ashrrev_i32_e32 v14, 1, v14
	v_add_u32_e32 v14, v14, v13
	v_lshl_add_u32 v15, v14, 3, v9
	v_not_b32_e32 v16, v14
	v_lshl_add_u32 v16, v16, 3, v11
	ds_read_b32 v17, v15
	ds_read_b32 v18, v16
	s_or_b64 s[20:21], s[20:21], exec
	s_waitcnt lgkmcnt(0)
	v_cmp_nlt_f32_e64 s[14:15], v18, v17
	s_and_saveexec_b64 s[22:23], s[14:15]
	s_cbranch_execz .LBB13_361
; %bb.363:                              ;   in Loop: Header=BB13_362 Depth=1
	v_cmp_eq_f32_e64 s[14:15], v18, v17
	s_mov_b64 s[24:25], 0
	s_and_saveexec_b64 s[26:27], s[14:15]
	s_cbranch_execz .LBB13_360
; %bb.364:                              ;   in Loop: Header=BB13_362 Depth=1
	ds_read_b32 v16, v16 offset:4
	ds_read_b32 v15, v15 offset:4
	s_waitcnt lgkmcnt(0)
	v_cmp_lt_f32_e64 s[14:15], v16, v15
	s_and_b64 s[24:25], s[14:15], exec
	s_branch .LBB13_360
.LBB13_365:
	s_or_b64 exec, exec, s[18:19]
.LBB13_366:
	s_or_b64 exec, exec, s[16:17]
	v_add_u32_e32 v8, v43, v8
	v_sub_u32_e32 v45, v8, v13
	v_lshl_add_u32 v14, v13, 3, v9
	v_lshl_add_u32 v16, v45, 3, v40
	ds_read_b64 v[8:9], v14
	ds_read_b64 v[10:11], v16
	v_cmp_le_i32_e64 s[14:15], v44, v45
                                        ; implicit-def: $sgpr18_sgpr19
	s_and_saveexec_b64 s[16:17], s[14:15]
	s_xor_b64 s[14:15], exec, s[16:17]
; %bb.367:
	s_mov_b64 s[18:19], 0
; %bb.368:
	s_or_saveexec_b64 s[20:21], s[14:15]
	v_add_u32_e32 v46, v13, v12
	s_xor_b64 exec, exec, s[20:21]
	s_cbranch_execz .LBB13_374
; %bb.369:
	v_cmp_gt_i32_e64 s[14:15], v43, v46
	s_waitcnt lgkmcnt(0)
	v_cmp_nlt_f32_e64 s[16:17], v10, v8
	s_and_b64 s[22:23], s[14:15], s[16:17]
	s_mov_b64 s[14:15], -1
	s_and_saveexec_b64 s[16:17], s[22:23]
	s_cbranch_execz .LBB13_373
; %bb.370:
	v_cmp_eq_f32_e64 s[14:15], v10, v8
	s_mov_b64 s[22:23], 0
	s_and_saveexec_b64 s[24:25], s[14:15]
; %bb.371:
	v_cmp_lt_f32_e64 s[14:15], v11, v9
	s_and_b64 s[22:23], s[14:15], exec
; %bb.372:
	s_or_b64 exec, exec, s[24:25]
	s_orn2_b64 s[14:15], s[22:23], exec
.LBB13_373:
	s_or_b64 exec, exec, s[16:17]
	s_andn2_b64 s[16:17], s[18:19], exec
	s_and_b64 s[14:15], s[14:15], exec
	s_or_b64 s[18:19], s[16:17], s[14:15]
.LBB13_374:
	s_or_b64 exec, exec, s[20:21]
	s_xor_b64 s[14:15], s[18:19], -1
                                        ; implicit-def: $vgpr12_vgpr13
	s_and_saveexec_b64 s[16:17], s[14:15]
	s_xor_b64 s[14:15], exec, s[16:17]
	s_cbranch_execz .LBB13_376
; %bb.375:
	ds_read_b64 v[12:13], v14 offset:8
                                        ; implicit-def: $vgpr16
.LBB13_376:
	s_or_saveexec_b64 s[14:15], s[14:15]
	s_waitcnt lgkmcnt(0)
	v_pk_mov_b32 v[14:15], v[10:11], v[10:11] op_sel:[0,1]
	s_xor_b64 exec, exec, s[14:15]
	s_cbranch_execz .LBB13_378
; %bb.377:
	ds_read_b64 v[14:15], v16 offset:8
	v_pk_mov_b32 v[12:13], v[8:9], v[8:9] op_sel:[0,1]
.LBB13_378:
	s_or_b64 exec, exec, s[14:15]
	v_add_u32_e32 v16, 1, v45
	v_add_u32_e32 v17, 1, v46
	v_cndmask_b32_e64 v47, v45, v16, s[18:19]
	v_cndmask_b32_e64 v48, v17, v46, s[18:19]
	v_cmp_lt_i32_e64 s[14:15], v47, v44
	s_mov_b64 s[20:21], 0
	s_and_saveexec_b64 s[22:23], s[14:15]
	s_cbranch_execz .LBB13_384
; %bb.379:
	v_cmp_lt_i32_e64 s[14:15], v48, v43
	s_waitcnt lgkmcnt(0)
	v_cmp_nlt_f32_e64 s[16:17], v14, v12
	s_and_b64 s[20:21], s[14:15], s[16:17]
	s_mov_b64 s[14:15], -1
	s_and_saveexec_b64 s[16:17], s[20:21]
	s_cbranch_execz .LBB13_383
; %bb.380:
	v_cmp_eq_f32_e64 s[14:15], v14, v12
	s_mov_b64 s[20:21], 0
	s_and_saveexec_b64 s[24:25], s[14:15]
; %bb.381:
	v_cmp_lt_f32_e64 s[14:15], v15, v13
	s_and_b64 s[20:21], s[14:15], exec
; %bb.382:
	s_or_b64 exec, exec, s[24:25]
	s_orn2_b64 s[14:15], s[20:21], exec
.LBB13_383:
	s_or_b64 exec, exec, s[16:17]
	s_and_b64 s[20:21], s[14:15], exec
.LBB13_384:
	s_or_b64 exec, exec, s[22:23]
	s_xor_b64 s[14:15], s[20:21], -1
                                        ; implicit-def: $vgpr16_vgpr17
	s_and_saveexec_b64 s[16:17], s[14:15]
	s_xor_b64 s[14:15], exec, s[16:17]
	s_cbranch_execz .LBB13_386
; %bb.385:
	v_lshl_add_u32 v16, v48, 3, v40
	ds_read_b64 v[16:17], v16 offset:8
.LBB13_386:
	s_or_saveexec_b64 s[14:15], s[14:15]
	s_waitcnt lgkmcnt(0)
	v_pk_mov_b32 v[18:19], v[14:15], v[14:15] op_sel:[0,1]
	s_xor_b64 exec, exec, s[14:15]
	s_cbranch_execz .LBB13_388
; %bb.387:
	v_lshl_add_u32 v16, v47, 3, v40
	ds_read_b64 v[18:19], v16 offset:8
	v_pk_mov_b32 v[16:17], v[12:13], v[12:13] op_sel:[0,1]
.LBB13_388:
	s_or_b64 exec, exec, s[14:15]
	v_add_u32_e32 v21, 1, v47
	v_cndmask_b32_e64 v49, v47, v21, s[20:21]
	v_add_u32_e32 v20, 1, v48
	v_cmp_ge_i32_e64 s[14:15], v49, v44
                                        ; implicit-def: $sgpr22_sgpr23
	s_and_saveexec_b64 s[16:17], s[14:15]
	s_xor_b64 s[14:15], exec, s[16:17]
; %bb.389:
	s_mov_b64 s[22:23], 0
; %bb.390:
	s_or_saveexec_b64 s[24:25], s[14:15]
	v_cndmask_b32_e64 v50, v20, v48, s[20:21]
	s_xor_b64 exec, exec, s[24:25]
	s_cbranch_execz .LBB13_396
; %bb.391:
	v_cmp_lt_i32_e64 s[14:15], v50, v43
	s_waitcnt lgkmcnt(0)
	v_cmp_nlt_f32_e64 s[16:17], v18, v16
	s_and_b64 s[26:27], s[14:15], s[16:17]
	s_mov_b64 s[14:15], -1
	s_and_saveexec_b64 s[16:17], s[26:27]
	s_cbranch_execz .LBB13_395
; %bb.392:
	v_cmp_eq_f32_e64 s[14:15], v18, v16
	s_mov_b64 s[26:27], 0
	s_and_saveexec_b64 s[28:29], s[14:15]
; %bb.393:
	v_cmp_lt_f32_e64 s[14:15], v19, v17
	s_and_b64 s[26:27], s[14:15], exec
; %bb.394:
	s_or_b64 exec, exec, s[28:29]
	s_orn2_b64 s[14:15], s[26:27], exec
.LBB13_395:
	s_or_b64 exec, exec, s[16:17]
	s_andn2_b64 s[16:17], s[22:23], exec
	s_and_b64 s[14:15], s[14:15], exec
	s_or_b64 s[22:23], s[16:17], s[14:15]
.LBB13_396:
	s_or_b64 exec, exec, s[24:25]
	s_xor_b64 s[14:15], s[22:23], -1
                                        ; implicit-def: $vgpr20_vgpr21
	s_and_saveexec_b64 s[16:17], s[14:15]
	s_xor_b64 s[14:15], exec, s[16:17]
	s_cbranch_execz .LBB13_398
; %bb.397:
	v_lshl_add_u32 v20, v50, 3, v40
	ds_read_b64 v[20:21], v20 offset:8
.LBB13_398:
	s_or_saveexec_b64 s[14:15], s[14:15]
	s_waitcnt lgkmcnt(0)
	v_pk_mov_b32 v[22:23], v[18:19], v[18:19] op_sel:[0,1]
	s_xor_b64 exec, exec, s[14:15]
	s_cbranch_execz .LBB13_400
; %bb.399:
	v_lshl_add_u32 v20, v49, 3, v40
	ds_read_b64 v[22:23], v20 offset:8
	v_pk_mov_b32 v[20:21], v[16:17], v[16:17] op_sel:[0,1]
.LBB13_400:
	s_or_b64 exec, exec, s[14:15]
	v_add_u32_e32 v24, 1, v49
	v_add_u32_e32 v25, 1, v50
	v_cndmask_b32_e64 v51, v49, v24, s[22:23]
	v_cndmask_b32_e64 v52, v25, v50, s[22:23]
	v_cmp_lt_i32_e64 s[14:15], v51, v44
	s_mov_b64 s[24:25], 0
	s_and_saveexec_b64 s[26:27], s[14:15]
	s_cbranch_execz .LBB13_406
; %bb.401:
	v_cmp_lt_i32_e64 s[14:15], v52, v43
	s_waitcnt lgkmcnt(0)
	v_cmp_nlt_f32_e64 s[16:17], v22, v20
	s_and_b64 s[24:25], s[14:15], s[16:17]
	s_mov_b64 s[14:15], -1
	s_and_saveexec_b64 s[16:17], s[24:25]
	s_cbranch_execz .LBB13_405
; %bb.402:
	v_cmp_eq_f32_e64 s[14:15], v22, v20
	s_mov_b64 s[24:25], 0
	s_and_saveexec_b64 s[28:29], s[14:15]
; %bb.403:
	v_cmp_lt_f32_e64 s[14:15], v23, v21
	s_and_b64 s[24:25], s[14:15], exec
; %bb.404:
	s_or_b64 exec, exec, s[28:29]
	s_orn2_b64 s[14:15], s[24:25], exec
.LBB13_405:
	s_or_b64 exec, exec, s[16:17]
	s_and_b64 s[24:25], s[14:15], exec
.LBB13_406:
	s_or_b64 exec, exec, s[26:27]
	s_xor_b64 s[14:15], s[24:25], -1
                                        ; implicit-def: $vgpr24_vgpr25
	s_and_saveexec_b64 s[16:17], s[14:15]
	s_xor_b64 s[14:15], exec, s[16:17]
	s_cbranch_execz .LBB13_408
; %bb.407:
	v_lshl_add_u32 v24, v52, 3, v40
	ds_read_b64 v[24:25], v24 offset:8
.LBB13_408:
	s_or_saveexec_b64 s[14:15], s[14:15]
	s_waitcnt lgkmcnt(0)
	v_pk_mov_b32 v[26:27], v[22:23], v[22:23] op_sel:[0,1]
	s_xor_b64 exec, exec, s[14:15]
	s_cbranch_execz .LBB13_410
; %bb.409:
	v_lshl_add_u32 v24, v51, 3, v40
	ds_read_b64 v[26:27], v24 offset:8
	v_pk_mov_b32 v[24:25], v[20:21], v[20:21] op_sel:[0,1]
.LBB13_410:
	s_or_b64 exec, exec, s[14:15]
	v_add_u32_e32 v29, 1, v51
	v_cndmask_b32_e64 v53, v51, v29, s[24:25]
	v_add_u32_e32 v28, 1, v52
	v_cmp_ge_i32_e64 s[14:15], v53, v44
                                        ; implicit-def: $sgpr26_sgpr27
	s_and_saveexec_b64 s[16:17], s[14:15]
	s_xor_b64 s[14:15], exec, s[16:17]
; %bb.411:
	s_mov_b64 s[26:27], 0
; %bb.412:
	s_or_saveexec_b64 s[28:29], s[14:15]
	v_cndmask_b32_e64 v54, v28, v52, s[24:25]
	s_xor_b64 exec, exec, s[28:29]
	s_cbranch_execz .LBB13_418
; %bb.413:
	v_cmp_lt_i32_e64 s[14:15], v54, v43
	s_waitcnt lgkmcnt(0)
	v_cmp_nlt_f32_e64 s[16:17], v26, v24
	s_and_b64 s[30:31], s[14:15], s[16:17]
	s_mov_b64 s[14:15], -1
	s_and_saveexec_b64 s[16:17], s[30:31]
	s_cbranch_execz .LBB13_417
; %bb.414:
	v_cmp_eq_f32_e64 s[14:15], v26, v24
	s_mov_b64 s[30:31], 0
	s_and_saveexec_b64 s[34:35], s[14:15]
; %bb.415:
	v_cmp_lt_f32_e64 s[14:15], v27, v25
	s_and_b64 s[30:31], s[14:15], exec
; %bb.416:
	s_or_b64 exec, exec, s[34:35]
	s_orn2_b64 s[14:15], s[30:31], exec
.LBB13_417:
	s_or_b64 exec, exec, s[16:17]
	s_andn2_b64 s[16:17], s[26:27], exec
	s_and_b64 s[14:15], s[14:15], exec
	s_or_b64 s[26:27], s[16:17], s[14:15]
.LBB13_418:
	s_or_b64 exec, exec, s[28:29]
	s_xor_b64 s[14:15], s[26:27], -1
                                        ; implicit-def: $vgpr28_vgpr29
	s_and_saveexec_b64 s[16:17], s[14:15]
	s_xor_b64 s[14:15], exec, s[16:17]
	s_cbranch_execz .LBB13_420
; %bb.419:
	v_lshl_add_u32 v28, v54, 3, v40
	ds_read_b64 v[28:29], v28 offset:8
.LBB13_420:
	s_or_saveexec_b64 s[14:15], s[14:15]
	s_waitcnt lgkmcnt(0)
	v_pk_mov_b32 v[30:31], v[26:27], v[26:27] op_sel:[0,1]
	s_xor_b64 exec, exec, s[14:15]
	s_cbranch_execz .LBB13_422
; %bb.421:
	v_lshl_add_u32 v28, v53, 3, v40
	ds_read_b64 v[30:31], v28 offset:8
	v_pk_mov_b32 v[28:29], v[24:25], v[24:25] op_sel:[0,1]
.LBB13_422:
	s_or_b64 exec, exec, s[14:15]
	v_add_u32_e32 v32, 1, v53
	v_add_u32_e32 v33, 1, v54
	v_cndmask_b32_e64 v55, v53, v32, s[26:27]
	v_cndmask_b32_e64 v56, v33, v54, s[26:27]
	v_cmp_lt_i32_e64 s[14:15], v55, v44
	s_mov_b64 s[28:29], 0
	s_and_saveexec_b64 s[30:31], s[14:15]
	s_cbranch_execz .LBB13_428
; %bb.423:
	v_cmp_lt_i32_e64 s[14:15], v56, v43
	s_waitcnt lgkmcnt(0)
	v_cmp_nlt_f32_e64 s[16:17], v30, v28
	s_and_b64 s[28:29], s[14:15], s[16:17]
	s_mov_b64 s[14:15], -1
	s_and_saveexec_b64 s[16:17], s[28:29]
	s_cbranch_execz .LBB13_427
; %bb.424:
	v_cmp_eq_f32_e64 s[14:15], v30, v28
	s_mov_b64 s[28:29], 0
	s_and_saveexec_b64 s[34:35], s[14:15]
; %bb.425:
	v_cmp_lt_f32_e64 s[14:15], v31, v29
	s_and_b64 s[28:29], s[14:15], exec
; %bb.426:
	s_or_b64 exec, exec, s[34:35]
	s_orn2_b64 s[14:15], s[28:29], exec
.LBB13_427:
	s_or_b64 exec, exec, s[16:17]
	s_and_b64 s[28:29], s[14:15], exec
.LBB13_428:
	s_or_b64 exec, exec, s[30:31]
	s_xor_b64 s[14:15], s[28:29], -1
                                        ; implicit-def: $vgpr32_vgpr33
	s_and_saveexec_b64 s[16:17], s[14:15]
	s_xor_b64 s[14:15], exec, s[16:17]
	s_cbranch_execz .LBB13_430
; %bb.429:
	v_lshl_add_u32 v32, v56, 3, v40
	ds_read_b64 v[32:33], v32 offset:8
.LBB13_430:
	s_or_saveexec_b64 s[14:15], s[14:15]
	s_waitcnt lgkmcnt(0)
	v_pk_mov_b32 v[34:35], v[30:31], v[30:31] op_sel:[0,1]
	s_xor_b64 exec, exec, s[14:15]
	s_cbranch_execz .LBB13_432
; %bb.431:
	v_lshl_add_u32 v32, v55, 3, v40
	ds_read_b64 v[34:35], v32 offset:8
	v_pk_mov_b32 v[32:33], v[28:29], v[28:29] op_sel:[0,1]
.LBB13_432:
	s_or_b64 exec, exec, s[14:15]
	v_add_u32_e32 v37, 1, v55
	v_cndmask_b32_e64 v57, v55, v37, s[28:29]
	v_add_u32_e32 v36, 1, v56
	v_cmp_ge_i32_e64 s[14:15], v57, v44
                                        ; implicit-def: $sgpr30_sgpr31
	s_and_saveexec_b64 s[16:17], s[14:15]
	s_xor_b64 s[14:15], exec, s[16:17]
; %bb.433:
	s_mov_b64 s[30:31], 0
; %bb.434:
	s_or_saveexec_b64 s[34:35], s[14:15]
	v_cndmask_b32_e64 v58, v36, v56, s[28:29]
	s_xor_b64 exec, exec, s[34:35]
	s_cbranch_execz .LBB13_440
; %bb.435:
	v_cmp_lt_i32_e64 s[14:15], v58, v43
	s_waitcnt lgkmcnt(0)
	v_cmp_nlt_f32_e64 s[16:17], v34, v32
	s_and_b64 s[36:37], s[14:15], s[16:17]
	s_mov_b64 s[14:15], -1
	s_and_saveexec_b64 s[16:17], s[36:37]
	s_cbranch_execz .LBB13_439
; %bb.436:
	v_cmp_eq_f32_e64 s[14:15], v34, v32
	s_mov_b64 s[36:37], 0
	s_and_saveexec_b64 s[38:39], s[14:15]
; %bb.437:
	v_cmp_lt_f32_e64 s[14:15], v35, v33
	s_and_b64 s[36:37], s[14:15], exec
; %bb.438:
	s_or_b64 exec, exec, s[38:39]
	s_orn2_b64 s[14:15], s[36:37], exec
.LBB13_439:
	s_or_b64 exec, exec, s[16:17]
	s_andn2_b64 s[16:17], s[30:31], exec
	s_and_b64 s[14:15], s[14:15], exec
	s_or_b64 s[30:31], s[16:17], s[14:15]
.LBB13_440:
	s_or_b64 exec, exec, s[34:35]
	s_xor_b64 s[14:15], s[30:31], -1
                                        ; implicit-def: $vgpr36_vgpr37
	s_and_saveexec_b64 s[16:17], s[14:15]
	s_xor_b64 s[14:15], exec, s[16:17]
	s_cbranch_execz .LBB13_442
; %bb.441:
	v_lshl_add_u32 v36, v58, 3, v40
	ds_read_b64 v[36:37], v36 offset:8
.LBB13_442:
	s_or_saveexec_b64 s[14:15], s[14:15]
	s_waitcnt lgkmcnt(0)
	v_pk_mov_b32 v[38:39], v[34:35], v[34:35] op_sel:[0,1]
	s_xor_b64 exec, exec, s[14:15]
	s_cbranch_execz .LBB13_444
; %bb.443:
	v_lshl_add_u32 v36, v57, 3, v40
	ds_read_b64 v[38:39], v36 offset:8
	v_pk_mov_b32 v[36:37], v[32:33], v[32:33] op_sel:[0,1]
.LBB13_444:
	s_or_b64 exec, exec, s[14:15]
	v_add_u32_e32 v59, 1, v57
	v_add_u32_e32 v60, 1, v58
	v_cndmask_b32_e64 v59, v57, v59, s[30:31]
	v_cndmask_b32_e64 v60, v60, v58, s[30:31]
	v_cmp_lt_i32_e64 s[14:15], v59, v44
	s_mov_b64 s[16:17], 0
	s_and_saveexec_b64 s[34:35], s[14:15]
	s_cbranch_execz .LBB13_450
; %bb.445:
	v_cmp_lt_i32_e64 s[14:15], v60, v43
	s_waitcnt lgkmcnt(0)
	v_cmp_nlt_f32_e64 s[16:17], v38, v36
	s_and_b64 s[36:37], s[14:15], s[16:17]
	s_mov_b64 s[14:15], -1
	s_and_saveexec_b64 s[16:17], s[36:37]
	s_cbranch_execz .LBB13_449
; %bb.446:
	v_cmp_eq_f32_e64 s[14:15], v38, v36
	s_mov_b64 s[36:37], 0
	s_and_saveexec_b64 s[38:39], s[14:15]
; %bb.447:
	v_cmp_lt_f32_e64 s[14:15], v39, v37
	s_and_b64 s[36:37], s[14:15], exec
; %bb.448:
	s_or_b64 exec, exec, s[38:39]
	s_orn2_b64 s[14:15], s[36:37], exec
.LBB13_449:
	s_or_b64 exec, exec, s[16:17]
	s_and_b64 s[16:17], s[14:15], exec
.LBB13_450:
	s_or_b64 exec, exec, s[34:35]
	v_cndmask_b32_e64 v20, v20, v22, s[24:25]
	v_cndmask_b32_e64 v22, v52, v51, s[24:25]
	;; [unrolled: 1-line block ×16, first 2 shown]
	; wave barrier
	ds_write2_b64 v41, v[2:3], v[6:7] offset1:1
	ds_write2_b64 v41, v[0:1], v[4:5] offset0:2 offset1:3
	v_lshl_add_u32 v0, v15, 2, v40
	v_lshl_add_u32 v1, v14, 2, v40
	;; [unrolled: 1-line block ×4, first 2 shown]
	v_cndmask_b32_e64 v8, v8, v10, s[18:19]
	v_cndmask_b32_e64 v9, v9, v11, s[18:19]
	; wave barrier
	v_lshl_add_u32 v14, v26, 2, v40
	v_lshl_add_u32 v15, v30, 2, v40
	;; [unrolled: 1-line block ×4, first 2 shown]
	ds_read_b32 v2, v0
	ds_read_b32 v3, v1
	;; [unrolled: 1-line block ×8, first 2 shown]
	v_cndmask_b32_e64 v33, v33, v35, s[30:31]
	v_cndmask_b32_e64 v29, v29, v31, s[28:29]
	;; [unrolled: 1-line block ×4, first 2 shown]
	s_waitcnt lgkmcnt(10)
	v_cndmask_b32_e64 v11, v37, v39, s[16:17]
	v_cndmask_b32_e64 v10, v36, v38, s[16:17]
	; wave barrier
	ds_write2_b64 v42, v[8:9], v[12:13] offset1:1
	ds_write2_b64 v42, v[16:17], v[20:21] offset0:2 offset1:3
	ds_write2_b64 v42, v[24:25], v[28:29] offset0:4 offset1:5
	;; [unrolled: 1-line block ×3, first 2 shown]
	v_and_b32_e32 v9, 0x80, v102
	v_min_i32_e32 v12, v100, v9
	v_add_u32_e32 v9, 64, v12
	v_min_i32_e32 v43, v100, v9
	v_add_u32_e32 v9, 64, v43
	v_and_b32_e32 v8, 0x78, v102
	v_min_i32_e32 v44, v100, v9
	v_min_i32_e32 v8, v100, v8
	v_sub_u32_e32 v11, v44, v43
	v_sub_u32_e32 v10, v43, v12
	;; [unrolled: 1-line block ×3, first 2 shown]
	v_cmp_ge_i32_e64 s[14:15], v8, v11
	v_cndmask_b32_e64 v13, 0, v13, s[14:15]
	v_min_i32_e32 v10, v8, v10
	v_lshl_add_u32 v9, v12, 3, v40
	v_cmp_lt_i32_e64 s[14:15], v13, v10
	; wave barrier
	s_and_saveexec_b64 s[16:17], s[14:15]
	s_cbranch_execz .LBB13_458
; %bb.451:
	v_lshlrev_b32_e32 v11, 3, v43
	v_lshlrev_b32_e32 v14, 3, v8
	v_add3_u32 v11, v40, v11, v14
	s_mov_b64 s[18:19], 0
                                        ; implicit-def: $sgpr20_sgpr21
	s_branch .LBB13_454
.LBB13_452:                             ;   in Loop: Header=BB13_454 Depth=1
	s_or_b64 exec, exec, s[26:27]
	s_andn2_b64 s[14:15], s[20:21], exec
	s_and_b64 s[20:21], s[24:25], exec
	s_or_b64 s[20:21], s[14:15], s[20:21]
.LBB13_453:                             ;   in Loop: Header=BB13_454 Depth=1
	s_or_b64 exec, exec, s[22:23]
	v_add_u32_e32 v15, 1, v14
	v_cndmask_b32_e64 v10, v10, v14, s[20:21]
	v_cndmask_b32_e64 v13, v15, v13, s[20:21]
	v_cmp_ge_i32_e64 s[14:15], v13, v10
	s_or_b64 s[18:19], s[14:15], s[18:19]
	s_andn2_b64 exec, exec, s[18:19]
	s_cbranch_execz .LBB13_457
.LBB13_454:                             ; =>This Inner Loop Header: Depth=1
	v_sub_u32_e32 v14, v10, v13
	v_lshrrev_b32_e32 v15, 31, v14
	v_add_u32_e32 v14, v14, v15
	v_ashrrev_i32_e32 v14, 1, v14
	v_add_u32_e32 v14, v14, v13
	v_lshl_add_u32 v15, v14, 3, v9
	v_not_b32_e32 v16, v14
	v_lshl_add_u32 v16, v16, 3, v11
	ds_read_b32 v17, v15
	ds_read_b32 v18, v16
	s_or_b64 s[20:21], s[20:21], exec
	s_waitcnt lgkmcnt(0)
	v_cmp_nlt_f32_e64 s[14:15], v18, v17
	s_and_saveexec_b64 s[22:23], s[14:15]
	s_cbranch_execz .LBB13_453
; %bb.455:                              ;   in Loop: Header=BB13_454 Depth=1
	v_cmp_eq_f32_e64 s[14:15], v18, v17
	s_mov_b64 s[24:25], 0
	s_and_saveexec_b64 s[26:27], s[14:15]
	s_cbranch_execz .LBB13_452
; %bb.456:                              ;   in Loop: Header=BB13_454 Depth=1
	ds_read_b32 v16, v16 offset:4
	ds_read_b32 v15, v15 offset:4
	s_waitcnt lgkmcnt(0)
	v_cmp_lt_f32_e64 s[14:15], v16, v15
	s_and_b64 s[24:25], s[14:15], exec
	s_branch .LBB13_452
.LBB13_457:
	s_or_b64 exec, exec, s[18:19]
.LBB13_458:
	s_or_b64 exec, exec, s[16:17]
	v_add_u32_e32 v8, v43, v8
	v_sub_u32_e32 v45, v8, v13
	v_lshl_add_u32 v14, v13, 3, v9
	v_lshl_add_u32 v16, v45, 3, v40
	ds_read_b64 v[8:9], v14
	ds_read_b64 v[10:11], v16
	v_cmp_le_i32_e64 s[14:15], v44, v45
                                        ; implicit-def: $sgpr18_sgpr19
	s_and_saveexec_b64 s[16:17], s[14:15]
	s_xor_b64 s[14:15], exec, s[16:17]
; %bb.459:
	s_mov_b64 s[18:19], 0
; %bb.460:
	s_or_saveexec_b64 s[20:21], s[14:15]
	v_add_u32_e32 v46, v13, v12
	s_xor_b64 exec, exec, s[20:21]
	s_cbranch_execz .LBB13_466
; %bb.461:
	v_cmp_gt_i32_e64 s[14:15], v43, v46
	s_waitcnt lgkmcnt(0)
	v_cmp_nlt_f32_e64 s[16:17], v10, v8
	s_and_b64 s[22:23], s[14:15], s[16:17]
	s_mov_b64 s[14:15], -1
	s_and_saveexec_b64 s[16:17], s[22:23]
	s_cbranch_execz .LBB13_465
; %bb.462:
	v_cmp_eq_f32_e64 s[14:15], v10, v8
	s_mov_b64 s[22:23], 0
	s_and_saveexec_b64 s[24:25], s[14:15]
; %bb.463:
	v_cmp_lt_f32_e64 s[14:15], v11, v9
	s_and_b64 s[22:23], s[14:15], exec
; %bb.464:
	s_or_b64 exec, exec, s[24:25]
	s_orn2_b64 s[14:15], s[22:23], exec
.LBB13_465:
	s_or_b64 exec, exec, s[16:17]
	s_andn2_b64 s[16:17], s[18:19], exec
	s_and_b64 s[14:15], s[14:15], exec
	s_or_b64 s[18:19], s[16:17], s[14:15]
.LBB13_466:
	s_or_b64 exec, exec, s[20:21]
	s_xor_b64 s[14:15], s[18:19], -1
                                        ; implicit-def: $vgpr12_vgpr13
	s_and_saveexec_b64 s[16:17], s[14:15]
	s_xor_b64 s[14:15], exec, s[16:17]
	s_cbranch_execz .LBB13_468
; %bb.467:
	ds_read_b64 v[12:13], v14 offset:8
                                        ; implicit-def: $vgpr16
.LBB13_468:
	s_or_saveexec_b64 s[14:15], s[14:15]
	s_waitcnt lgkmcnt(0)
	v_pk_mov_b32 v[14:15], v[10:11], v[10:11] op_sel:[0,1]
	s_xor_b64 exec, exec, s[14:15]
	s_cbranch_execz .LBB13_470
; %bb.469:
	ds_read_b64 v[14:15], v16 offset:8
	v_pk_mov_b32 v[12:13], v[8:9], v[8:9] op_sel:[0,1]
.LBB13_470:
	s_or_b64 exec, exec, s[14:15]
	v_add_u32_e32 v16, 1, v45
	v_add_u32_e32 v17, 1, v46
	v_cndmask_b32_e64 v47, v45, v16, s[18:19]
	v_cndmask_b32_e64 v48, v17, v46, s[18:19]
	v_cmp_lt_i32_e64 s[14:15], v47, v44
	s_mov_b64 s[20:21], 0
	s_and_saveexec_b64 s[22:23], s[14:15]
	s_cbranch_execz .LBB13_476
; %bb.471:
	v_cmp_lt_i32_e64 s[14:15], v48, v43
	s_waitcnt lgkmcnt(0)
	v_cmp_nlt_f32_e64 s[16:17], v14, v12
	s_and_b64 s[20:21], s[14:15], s[16:17]
	s_mov_b64 s[14:15], -1
	s_and_saveexec_b64 s[16:17], s[20:21]
	s_cbranch_execz .LBB13_475
; %bb.472:
	v_cmp_eq_f32_e64 s[14:15], v14, v12
	s_mov_b64 s[20:21], 0
	s_and_saveexec_b64 s[24:25], s[14:15]
; %bb.473:
	v_cmp_lt_f32_e64 s[14:15], v15, v13
	s_and_b64 s[20:21], s[14:15], exec
; %bb.474:
	s_or_b64 exec, exec, s[24:25]
	s_orn2_b64 s[14:15], s[20:21], exec
.LBB13_475:
	s_or_b64 exec, exec, s[16:17]
	s_and_b64 s[20:21], s[14:15], exec
.LBB13_476:
	s_or_b64 exec, exec, s[22:23]
	s_xor_b64 s[14:15], s[20:21], -1
                                        ; implicit-def: $vgpr16_vgpr17
	s_and_saveexec_b64 s[16:17], s[14:15]
	s_xor_b64 s[14:15], exec, s[16:17]
	s_cbranch_execz .LBB13_478
; %bb.477:
	v_lshl_add_u32 v16, v48, 3, v40
	ds_read_b64 v[16:17], v16 offset:8
.LBB13_478:
	s_or_saveexec_b64 s[14:15], s[14:15]
	s_waitcnt lgkmcnt(0)
	v_pk_mov_b32 v[18:19], v[14:15], v[14:15] op_sel:[0,1]
	s_xor_b64 exec, exec, s[14:15]
	s_cbranch_execz .LBB13_480
; %bb.479:
	v_lshl_add_u32 v16, v47, 3, v40
	ds_read_b64 v[18:19], v16 offset:8
	v_pk_mov_b32 v[16:17], v[12:13], v[12:13] op_sel:[0,1]
.LBB13_480:
	s_or_b64 exec, exec, s[14:15]
	v_add_u32_e32 v21, 1, v47
	v_cndmask_b32_e64 v49, v47, v21, s[20:21]
	v_add_u32_e32 v20, 1, v48
	v_cmp_ge_i32_e64 s[14:15], v49, v44
                                        ; implicit-def: $sgpr22_sgpr23
	s_and_saveexec_b64 s[16:17], s[14:15]
	s_xor_b64 s[14:15], exec, s[16:17]
; %bb.481:
	s_mov_b64 s[22:23], 0
; %bb.482:
	s_or_saveexec_b64 s[24:25], s[14:15]
	v_cndmask_b32_e64 v50, v20, v48, s[20:21]
	s_xor_b64 exec, exec, s[24:25]
	s_cbranch_execz .LBB13_488
; %bb.483:
	v_cmp_lt_i32_e64 s[14:15], v50, v43
	s_waitcnt lgkmcnt(0)
	v_cmp_nlt_f32_e64 s[16:17], v18, v16
	s_and_b64 s[26:27], s[14:15], s[16:17]
	s_mov_b64 s[14:15], -1
	s_and_saveexec_b64 s[16:17], s[26:27]
	s_cbranch_execz .LBB13_487
; %bb.484:
	v_cmp_eq_f32_e64 s[14:15], v18, v16
	s_mov_b64 s[26:27], 0
	s_and_saveexec_b64 s[28:29], s[14:15]
; %bb.485:
	v_cmp_lt_f32_e64 s[14:15], v19, v17
	s_and_b64 s[26:27], s[14:15], exec
; %bb.486:
	s_or_b64 exec, exec, s[28:29]
	s_orn2_b64 s[14:15], s[26:27], exec
.LBB13_487:
	s_or_b64 exec, exec, s[16:17]
	s_andn2_b64 s[16:17], s[22:23], exec
	s_and_b64 s[14:15], s[14:15], exec
	s_or_b64 s[22:23], s[16:17], s[14:15]
.LBB13_488:
	s_or_b64 exec, exec, s[24:25]
	s_xor_b64 s[14:15], s[22:23], -1
                                        ; implicit-def: $vgpr20_vgpr21
	s_and_saveexec_b64 s[16:17], s[14:15]
	s_xor_b64 s[14:15], exec, s[16:17]
	s_cbranch_execz .LBB13_490
; %bb.489:
	v_lshl_add_u32 v20, v50, 3, v40
	ds_read_b64 v[20:21], v20 offset:8
.LBB13_490:
	s_or_saveexec_b64 s[14:15], s[14:15]
	s_waitcnt lgkmcnt(0)
	v_pk_mov_b32 v[22:23], v[18:19], v[18:19] op_sel:[0,1]
	s_xor_b64 exec, exec, s[14:15]
	s_cbranch_execz .LBB13_492
; %bb.491:
	v_lshl_add_u32 v20, v49, 3, v40
	ds_read_b64 v[22:23], v20 offset:8
	v_pk_mov_b32 v[20:21], v[16:17], v[16:17] op_sel:[0,1]
.LBB13_492:
	s_or_b64 exec, exec, s[14:15]
	v_add_u32_e32 v24, 1, v49
	v_add_u32_e32 v25, 1, v50
	v_cndmask_b32_e64 v51, v49, v24, s[22:23]
	v_cndmask_b32_e64 v52, v25, v50, s[22:23]
	v_cmp_lt_i32_e64 s[14:15], v51, v44
	s_mov_b64 s[24:25], 0
	s_and_saveexec_b64 s[26:27], s[14:15]
	s_cbranch_execz .LBB13_498
; %bb.493:
	v_cmp_lt_i32_e64 s[14:15], v52, v43
	s_waitcnt lgkmcnt(0)
	v_cmp_nlt_f32_e64 s[16:17], v22, v20
	s_and_b64 s[24:25], s[14:15], s[16:17]
	s_mov_b64 s[14:15], -1
	s_and_saveexec_b64 s[16:17], s[24:25]
	s_cbranch_execz .LBB13_497
; %bb.494:
	v_cmp_eq_f32_e64 s[14:15], v22, v20
	s_mov_b64 s[24:25], 0
	s_and_saveexec_b64 s[28:29], s[14:15]
; %bb.495:
	v_cmp_lt_f32_e64 s[14:15], v23, v21
	s_and_b64 s[24:25], s[14:15], exec
; %bb.496:
	s_or_b64 exec, exec, s[28:29]
	s_orn2_b64 s[14:15], s[24:25], exec
.LBB13_497:
	s_or_b64 exec, exec, s[16:17]
	s_and_b64 s[24:25], s[14:15], exec
.LBB13_498:
	s_or_b64 exec, exec, s[26:27]
	s_xor_b64 s[14:15], s[24:25], -1
                                        ; implicit-def: $vgpr24_vgpr25
	s_and_saveexec_b64 s[16:17], s[14:15]
	s_xor_b64 s[14:15], exec, s[16:17]
	s_cbranch_execz .LBB13_500
; %bb.499:
	v_lshl_add_u32 v24, v52, 3, v40
	ds_read_b64 v[24:25], v24 offset:8
.LBB13_500:
	s_or_saveexec_b64 s[14:15], s[14:15]
	s_waitcnt lgkmcnt(0)
	v_pk_mov_b32 v[26:27], v[22:23], v[22:23] op_sel:[0,1]
	s_xor_b64 exec, exec, s[14:15]
	s_cbranch_execz .LBB13_502
; %bb.501:
	v_lshl_add_u32 v24, v51, 3, v40
	ds_read_b64 v[26:27], v24 offset:8
	v_pk_mov_b32 v[24:25], v[20:21], v[20:21] op_sel:[0,1]
.LBB13_502:
	s_or_b64 exec, exec, s[14:15]
	v_add_u32_e32 v29, 1, v51
	v_cndmask_b32_e64 v53, v51, v29, s[24:25]
	v_add_u32_e32 v28, 1, v52
	v_cmp_ge_i32_e64 s[14:15], v53, v44
                                        ; implicit-def: $sgpr26_sgpr27
	s_and_saveexec_b64 s[16:17], s[14:15]
	s_xor_b64 s[14:15], exec, s[16:17]
; %bb.503:
	s_mov_b64 s[26:27], 0
; %bb.504:
	s_or_saveexec_b64 s[28:29], s[14:15]
	v_cndmask_b32_e64 v54, v28, v52, s[24:25]
	s_xor_b64 exec, exec, s[28:29]
	s_cbranch_execz .LBB13_510
; %bb.505:
	v_cmp_lt_i32_e64 s[14:15], v54, v43
	s_waitcnt lgkmcnt(0)
	v_cmp_nlt_f32_e64 s[16:17], v26, v24
	s_and_b64 s[30:31], s[14:15], s[16:17]
	s_mov_b64 s[14:15], -1
	s_and_saveexec_b64 s[16:17], s[30:31]
	s_cbranch_execz .LBB13_509
; %bb.506:
	v_cmp_eq_f32_e64 s[14:15], v26, v24
	s_mov_b64 s[30:31], 0
	s_and_saveexec_b64 s[34:35], s[14:15]
; %bb.507:
	v_cmp_lt_f32_e64 s[14:15], v27, v25
	s_and_b64 s[30:31], s[14:15], exec
; %bb.508:
	s_or_b64 exec, exec, s[34:35]
	s_orn2_b64 s[14:15], s[30:31], exec
.LBB13_509:
	s_or_b64 exec, exec, s[16:17]
	s_andn2_b64 s[16:17], s[26:27], exec
	s_and_b64 s[14:15], s[14:15], exec
	s_or_b64 s[26:27], s[16:17], s[14:15]
.LBB13_510:
	s_or_b64 exec, exec, s[28:29]
	s_xor_b64 s[14:15], s[26:27], -1
                                        ; implicit-def: $vgpr28_vgpr29
	s_and_saveexec_b64 s[16:17], s[14:15]
	s_xor_b64 s[14:15], exec, s[16:17]
	s_cbranch_execz .LBB13_512
; %bb.511:
	v_lshl_add_u32 v28, v54, 3, v40
	ds_read_b64 v[28:29], v28 offset:8
.LBB13_512:
	s_or_saveexec_b64 s[14:15], s[14:15]
	s_waitcnt lgkmcnt(0)
	v_pk_mov_b32 v[30:31], v[26:27], v[26:27] op_sel:[0,1]
	s_xor_b64 exec, exec, s[14:15]
	s_cbranch_execz .LBB13_514
; %bb.513:
	v_lshl_add_u32 v28, v53, 3, v40
	ds_read_b64 v[30:31], v28 offset:8
	v_pk_mov_b32 v[28:29], v[24:25], v[24:25] op_sel:[0,1]
.LBB13_514:
	s_or_b64 exec, exec, s[14:15]
	v_add_u32_e32 v32, 1, v53
	v_add_u32_e32 v33, 1, v54
	v_cndmask_b32_e64 v55, v53, v32, s[26:27]
	v_cndmask_b32_e64 v56, v33, v54, s[26:27]
	v_cmp_lt_i32_e64 s[14:15], v55, v44
	s_mov_b64 s[28:29], 0
	s_and_saveexec_b64 s[30:31], s[14:15]
	s_cbranch_execz .LBB13_520
; %bb.515:
	v_cmp_lt_i32_e64 s[14:15], v56, v43
	s_waitcnt lgkmcnt(0)
	v_cmp_nlt_f32_e64 s[16:17], v30, v28
	s_and_b64 s[28:29], s[14:15], s[16:17]
	s_mov_b64 s[14:15], -1
	s_and_saveexec_b64 s[16:17], s[28:29]
	s_cbranch_execz .LBB13_519
; %bb.516:
	v_cmp_eq_f32_e64 s[14:15], v30, v28
	s_mov_b64 s[28:29], 0
	s_and_saveexec_b64 s[34:35], s[14:15]
; %bb.517:
	v_cmp_lt_f32_e64 s[14:15], v31, v29
	s_and_b64 s[28:29], s[14:15], exec
; %bb.518:
	s_or_b64 exec, exec, s[34:35]
	s_orn2_b64 s[14:15], s[28:29], exec
.LBB13_519:
	s_or_b64 exec, exec, s[16:17]
	s_and_b64 s[28:29], s[14:15], exec
.LBB13_520:
	s_or_b64 exec, exec, s[30:31]
	s_xor_b64 s[14:15], s[28:29], -1
                                        ; implicit-def: $vgpr32_vgpr33
	s_and_saveexec_b64 s[16:17], s[14:15]
	s_xor_b64 s[14:15], exec, s[16:17]
	s_cbranch_execz .LBB13_522
; %bb.521:
	v_lshl_add_u32 v32, v56, 3, v40
	ds_read_b64 v[32:33], v32 offset:8
.LBB13_522:
	s_or_saveexec_b64 s[14:15], s[14:15]
	s_waitcnt lgkmcnt(0)
	v_pk_mov_b32 v[34:35], v[30:31], v[30:31] op_sel:[0,1]
	s_xor_b64 exec, exec, s[14:15]
	s_cbranch_execz .LBB13_524
; %bb.523:
	v_lshl_add_u32 v32, v55, 3, v40
	ds_read_b64 v[34:35], v32 offset:8
	v_pk_mov_b32 v[32:33], v[28:29], v[28:29] op_sel:[0,1]
.LBB13_524:
	s_or_b64 exec, exec, s[14:15]
	v_add_u32_e32 v37, 1, v55
	v_cndmask_b32_e64 v57, v55, v37, s[28:29]
	v_add_u32_e32 v36, 1, v56
	v_cmp_ge_i32_e64 s[14:15], v57, v44
                                        ; implicit-def: $sgpr30_sgpr31
	s_and_saveexec_b64 s[16:17], s[14:15]
	s_xor_b64 s[14:15], exec, s[16:17]
; %bb.525:
	s_mov_b64 s[30:31], 0
; %bb.526:
	s_or_saveexec_b64 s[34:35], s[14:15]
	v_cndmask_b32_e64 v58, v36, v56, s[28:29]
	s_xor_b64 exec, exec, s[34:35]
	s_cbranch_execz .LBB13_532
; %bb.527:
	v_cmp_lt_i32_e64 s[14:15], v58, v43
	s_waitcnt lgkmcnt(0)
	v_cmp_nlt_f32_e64 s[16:17], v34, v32
	s_and_b64 s[36:37], s[14:15], s[16:17]
	s_mov_b64 s[14:15], -1
	s_and_saveexec_b64 s[16:17], s[36:37]
	s_cbranch_execz .LBB13_531
; %bb.528:
	v_cmp_eq_f32_e64 s[14:15], v34, v32
	s_mov_b64 s[36:37], 0
	s_and_saveexec_b64 s[38:39], s[14:15]
; %bb.529:
	v_cmp_lt_f32_e64 s[14:15], v35, v33
	s_and_b64 s[36:37], s[14:15], exec
; %bb.530:
	s_or_b64 exec, exec, s[38:39]
	s_orn2_b64 s[14:15], s[36:37], exec
.LBB13_531:
	s_or_b64 exec, exec, s[16:17]
	s_andn2_b64 s[16:17], s[30:31], exec
	s_and_b64 s[14:15], s[14:15], exec
	s_or_b64 s[30:31], s[16:17], s[14:15]
.LBB13_532:
	s_or_b64 exec, exec, s[34:35]
	s_xor_b64 s[14:15], s[30:31], -1
                                        ; implicit-def: $vgpr36_vgpr37
	s_and_saveexec_b64 s[16:17], s[14:15]
	s_xor_b64 s[14:15], exec, s[16:17]
	s_cbranch_execz .LBB13_534
; %bb.533:
	v_lshl_add_u32 v36, v58, 3, v40
	ds_read_b64 v[36:37], v36 offset:8
.LBB13_534:
	s_or_saveexec_b64 s[14:15], s[14:15]
	s_waitcnt lgkmcnt(0)
	v_pk_mov_b32 v[38:39], v[34:35], v[34:35] op_sel:[0,1]
	s_xor_b64 exec, exec, s[14:15]
	s_cbranch_execz .LBB13_536
; %bb.535:
	v_lshl_add_u32 v36, v57, 3, v40
	ds_read_b64 v[38:39], v36 offset:8
	v_pk_mov_b32 v[36:37], v[32:33], v[32:33] op_sel:[0,1]
.LBB13_536:
	s_or_b64 exec, exec, s[14:15]
	v_add_u32_e32 v59, 1, v57
	v_add_u32_e32 v60, 1, v58
	v_cndmask_b32_e64 v59, v57, v59, s[30:31]
	v_cndmask_b32_e64 v60, v60, v58, s[30:31]
	v_cmp_lt_i32_e64 s[14:15], v59, v44
	s_mov_b64 s[16:17], 0
	s_and_saveexec_b64 s[34:35], s[14:15]
	s_cbranch_execz .LBB13_542
; %bb.537:
	v_cmp_lt_i32_e64 s[14:15], v60, v43
	s_waitcnt lgkmcnt(0)
	v_cmp_nlt_f32_e64 s[16:17], v38, v36
	s_and_b64 s[36:37], s[14:15], s[16:17]
	s_mov_b64 s[14:15], -1
	s_and_saveexec_b64 s[16:17], s[36:37]
	s_cbranch_execz .LBB13_541
; %bb.538:
	v_cmp_eq_f32_e64 s[14:15], v38, v36
	s_mov_b64 s[36:37], 0
	s_and_saveexec_b64 s[38:39], s[14:15]
; %bb.539:
	v_cmp_lt_f32_e64 s[14:15], v39, v37
	s_and_b64 s[36:37], s[14:15], exec
; %bb.540:
	s_or_b64 exec, exec, s[38:39]
	s_orn2_b64 s[14:15], s[36:37], exec
.LBB13_541:
	s_or_b64 exec, exec, s[16:17]
	s_and_b64 s[16:17], s[14:15], exec
.LBB13_542:
	s_or_b64 exec, exec, s[34:35]
	v_cndmask_b32_e64 v20, v20, v22, s[24:25]
	v_cndmask_b32_e64 v22, v52, v51, s[24:25]
	;; [unrolled: 1-line block ×16, first 2 shown]
	; wave barrier
	ds_write2_b64 v41, v[2:3], v[6:7] offset1:1
	ds_write2_b64 v41, v[0:1], v[4:5] offset0:2 offset1:3
	v_lshl_add_u32 v0, v15, 2, v40
	v_lshl_add_u32 v1, v14, 2, v40
	v_lshl_add_u32 v4, v18, 2, v40
	v_lshl_add_u32 v5, v22, 2, v40
	; wave barrier
	v_lshl_add_u32 v14, v26, 2, v40
	v_lshl_add_u32 v15, v30, 2, v40
	v_lshl_add_u32 v18, v34, 2, v40
	v_lshl_add_u32 v19, v19, 2, v40
	ds_read_b32 v2, v0
	ds_read_b32 v3, v1
	;; [unrolled: 1-line block ×8, first 2 shown]
	v_cndmask_b32_e64 v8, v8, v10, s[18:19]
	v_cndmask_b32_e64 v9, v9, v11, s[18:19]
	;; [unrolled: 1-line block ×6, first 2 shown]
	s_waitcnt lgkmcnt(10)
	v_cndmask_b32_e64 v11, v37, v39, s[16:17]
	v_cndmask_b32_e64 v10, v36, v38, s[16:17]
	; wave barrier
	ds_write2_b64 v42, v[8:9], v[12:13] offset1:1
	ds_write2_b64 v42, v[16:17], v[20:21] offset0:2 offset1:3
	ds_write2_b64 v42, v[24:25], v[28:29] offset0:4 offset1:5
	;; [unrolled: 1-line block ×3, first 2 shown]
	v_min_i32_e32 v12, 0, v100
	v_add_u32_e32 v9, 0x80, v12
	v_min_i32_e32 v42, v100, v9
	v_add_u32_e32 v9, 0x80, v42
	v_min_i32_e32 v43, v100, v9
	v_min_i32_e32 v8, v100, v101
	v_sub_u32_e32 v11, v43, v42
	v_sub_u32_e32 v10, v42, v12
	v_sub_u32_e32 v13, v8, v11
	v_cmp_ge_i32_e64 s[14:15], v8, v11
	v_cndmask_b32_e64 v13, 0, v13, s[14:15]
	v_min_i32_e32 v10, v8, v10
	v_lshl_add_u32 v9, v12, 3, v40
	v_cmp_lt_i32_e64 s[14:15], v13, v10
	; wave barrier
	s_and_saveexec_b64 s[16:17], s[14:15]
	s_cbranch_execz .LBB13_550
; %bb.543:
	v_lshlrev_b32_e32 v11, 3, v42
	v_lshlrev_b32_e32 v14, 3, v8
	v_add3_u32 v11, v40, v11, v14
	s_mov_b64 s[18:19], 0
                                        ; implicit-def: $sgpr20_sgpr21
	s_branch .LBB13_546
.LBB13_544:                             ;   in Loop: Header=BB13_546 Depth=1
	s_or_b64 exec, exec, s[26:27]
	s_andn2_b64 s[14:15], s[20:21], exec
	s_and_b64 s[20:21], s[24:25], exec
	s_or_b64 s[20:21], s[14:15], s[20:21]
.LBB13_545:                             ;   in Loop: Header=BB13_546 Depth=1
	s_or_b64 exec, exec, s[22:23]
	v_add_u32_e32 v15, 1, v14
	v_cndmask_b32_e64 v10, v10, v14, s[20:21]
	v_cndmask_b32_e64 v13, v15, v13, s[20:21]
	v_cmp_ge_i32_e64 s[14:15], v13, v10
	s_or_b64 s[18:19], s[14:15], s[18:19]
	s_andn2_b64 exec, exec, s[18:19]
	s_cbranch_execz .LBB13_549
.LBB13_546:                             ; =>This Inner Loop Header: Depth=1
	v_sub_u32_e32 v14, v10, v13
	v_lshrrev_b32_e32 v15, 31, v14
	v_add_u32_e32 v14, v14, v15
	v_ashrrev_i32_e32 v14, 1, v14
	v_add_u32_e32 v14, v14, v13
	v_lshl_add_u32 v15, v14, 3, v9
	v_not_b32_e32 v16, v14
	v_lshl_add_u32 v16, v16, 3, v11
	ds_read_b32 v17, v15
	ds_read_b32 v18, v16
	s_or_b64 s[20:21], s[20:21], exec
	s_waitcnt lgkmcnt(0)
	v_cmp_nlt_f32_e64 s[14:15], v18, v17
	s_and_saveexec_b64 s[22:23], s[14:15]
	s_cbranch_execz .LBB13_545
; %bb.547:                              ;   in Loop: Header=BB13_546 Depth=1
	v_cmp_eq_f32_e64 s[14:15], v18, v17
	s_mov_b64 s[24:25], 0
	s_and_saveexec_b64 s[26:27], s[14:15]
	s_cbranch_execz .LBB13_544
; %bb.548:                              ;   in Loop: Header=BB13_546 Depth=1
	ds_read_b32 v16, v16 offset:4
	ds_read_b32 v15, v15 offset:4
	s_waitcnt lgkmcnt(0)
	v_cmp_lt_f32_e64 s[14:15], v16, v15
	s_and_b64 s[24:25], s[14:15], exec
	s_branch .LBB13_544
.LBB13_549:
	s_or_b64 exec, exec, s[18:19]
.LBB13_550:
	s_or_b64 exec, exec, s[16:17]
	v_add_u32_e32 v8, v8, v42
	v_sub_u32_e32 v44, v8, v13
	v_lshl_add_u32 v14, v13, 3, v9
	v_lshl_add_u32 v16, v44, 3, v40
	ds_read_b64 v[8:9], v14
	ds_read_b64 v[10:11], v16
	v_cmp_le_i32_e64 s[14:15], v43, v44
                                        ; implicit-def: $sgpr18_sgpr19
	s_and_saveexec_b64 s[16:17], s[14:15]
	s_xor_b64 s[14:15], exec, s[16:17]
; %bb.551:
	s_mov_b64 s[18:19], 0
; %bb.552:
	s_or_saveexec_b64 s[20:21], s[14:15]
	v_add_u32_e32 v45, v13, v12
	s_xor_b64 exec, exec, s[20:21]
	s_cbranch_execz .LBB13_558
; %bb.553:
	v_cmp_gt_i32_e64 s[14:15], v42, v45
	s_waitcnt lgkmcnt(0)
	v_cmp_nlt_f32_e64 s[16:17], v10, v8
	s_and_b64 s[22:23], s[14:15], s[16:17]
	s_mov_b64 s[14:15], -1
	s_and_saveexec_b64 s[16:17], s[22:23]
	s_cbranch_execz .LBB13_557
; %bb.554:
	v_cmp_eq_f32_e64 s[14:15], v10, v8
	s_mov_b64 s[22:23], 0
	s_and_saveexec_b64 s[24:25], s[14:15]
; %bb.555:
	v_cmp_lt_f32_e64 s[14:15], v11, v9
	s_and_b64 s[22:23], s[14:15], exec
; %bb.556:
	s_or_b64 exec, exec, s[24:25]
	s_orn2_b64 s[14:15], s[22:23], exec
.LBB13_557:
	s_or_b64 exec, exec, s[16:17]
	s_andn2_b64 s[16:17], s[18:19], exec
	s_and_b64 s[14:15], s[14:15], exec
	s_or_b64 s[18:19], s[16:17], s[14:15]
.LBB13_558:
	s_or_b64 exec, exec, s[20:21]
	s_xor_b64 s[14:15], s[18:19], -1
                                        ; implicit-def: $vgpr12_vgpr13
	s_and_saveexec_b64 s[16:17], s[14:15]
	s_xor_b64 s[14:15], exec, s[16:17]
	s_cbranch_execz .LBB13_560
; %bb.559:
	ds_read_b64 v[12:13], v14 offset:8
                                        ; implicit-def: $vgpr16
.LBB13_560:
	s_or_saveexec_b64 s[14:15], s[14:15]
	s_waitcnt lgkmcnt(0)
	v_pk_mov_b32 v[14:15], v[10:11], v[10:11] op_sel:[0,1]
	s_xor_b64 exec, exec, s[14:15]
	s_cbranch_execz .LBB13_562
; %bb.561:
	ds_read_b64 v[14:15], v16 offset:8
	v_pk_mov_b32 v[12:13], v[8:9], v[8:9] op_sel:[0,1]
.LBB13_562:
	s_or_b64 exec, exec, s[14:15]
	v_add_u32_e32 v17, 1, v44
	v_cndmask_b32_e64 v46, v44, v17, s[18:19]
	v_add_u32_e32 v16, 1, v45
	v_cmp_ge_i32_e64 s[14:15], v46, v43
                                        ; implicit-def: $sgpr20_sgpr21
	s_and_saveexec_b64 s[16:17], s[14:15]
	s_xor_b64 s[14:15], exec, s[16:17]
; %bb.563:
	s_mov_b64 s[20:21], 0
; %bb.564:
	s_or_saveexec_b64 s[22:23], s[14:15]
	v_cndmask_b32_e64 v47, v16, v45, s[18:19]
	s_xor_b64 exec, exec, s[22:23]
	s_cbranch_execz .LBB13_570
; %bb.565:
	v_cmp_lt_i32_e64 s[14:15], v47, v42
	s_waitcnt lgkmcnt(0)
	v_cmp_nlt_f32_e64 s[16:17], v14, v12
	s_and_b64 s[24:25], s[14:15], s[16:17]
	s_mov_b64 s[14:15], -1
	s_and_saveexec_b64 s[16:17], s[24:25]
	s_cbranch_execz .LBB13_569
; %bb.566:
	v_cmp_eq_f32_e64 s[14:15], v14, v12
	s_mov_b64 s[24:25], 0
	s_and_saveexec_b64 s[26:27], s[14:15]
; %bb.567:
	v_cmp_lt_f32_e64 s[14:15], v15, v13
	s_and_b64 s[24:25], s[14:15], exec
; %bb.568:
	s_or_b64 exec, exec, s[26:27]
	s_orn2_b64 s[14:15], s[24:25], exec
.LBB13_569:
	s_or_b64 exec, exec, s[16:17]
	s_andn2_b64 s[16:17], s[20:21], exec
	s_and_b64 s[14:15], s[14:15], exec
	s_or_b64 s[20:21], s[16:17], s[14:15]
.LBB13_570:
	s_or_b64 exec, exec, s[22:23]
	s_xor_b64 s[14:15], s[20:21], -1
                                        ; implicit-def: $vgpr16_vgpr17
	s_and_saveexec_b64 s[16:17], s[14:15]
	s_xor_b64 s[14:15], exec, s[16:17]
	s_cbranch_execz .LBB13_572
; %bb.571:
	v_lshl_add_u32 v16, v47, 3, v40
	ds_read_b64 v[16:17], v16 offset:8
.LBB13_572:
	s_or_saveexec_b64 s[14:15], s[14:15]
	s_waitcnt lgkmcnt(0)
	v_pk_mov_b32 v[18:19], v[14:15], v[14:15] op_sel:[0,1]
	s_xor_b64 exec, exec, s[14:15]
	s_cbranch_execz .LBB13_574
; %bb.573:
	v_lshl_add_u32 v16, v46, 3, v40
	ds_read_b64 v[18:19], v16 offset:8
	v_pk_mov_b32 v[16:17], v[12:13], v[12:13] op_sel:[0,1]
.LBB13_574:
	s_or_b64 exec, exec, s[14:15]
	v_add_u32_e32 v21, 1, v46
	v_cndmask_b32_e64 v48, v46, v21, s[20:21]
	v_add_u32_e32 v20, 1, v47
	v_cmp_ge_i32_e64 s[14:15], v48, v43
                                        ; implicit-def: $sgpr22_sgpr23
	s_and_saveexec_b64 s[16:17], s[14:15]
	s_xor_b64 s[14:15], exec, s[16:17]
; %bb.575:
	s_mov_b64 s[22:23], 0
; %bb.576:
	s_or_saveexec_b64 s[24:25], s[14:15]
	v_cndmask_b32_e64 v49, v20, v47, s[20:21]
	s_xor_b64 exec, exec, s[24:25]
	s_cbranch_execz .LBB13_582
; %bb.577:
	v_cmp_lt_i32_e64 s[14:15], v49, v42
	s_waitcnt lgkmcnt(0)
	v_cmp_nlt_f32_e64 s[16:17], v18, v16
	s_and_b64 s[26:27], s[14:15], s[16:17]
	s_mov_b64 s[14:15], -1
	s_and_saveexec_b64 s[16:17], s[26:27]
	s_cbranch_execz .LBB13_581
; %bb.578:
	v_cmp_eq_f32_e64 s[14:15], v18, v16
	s_mov_b64 s[26:27], 0
	s_and_saveexec_b64 s[28:29], s[14:15]
; %bb.579:
	v_cmp_lt_f32_e64 s[14:15], v19, v17
	s_and_b64 s[26:27], s[14:15], exec
; %bb.580:
	s_or_b64 exec, exec, s[28:29]
	s_orn2_b64 s[14:15], s[26:27], exec
.LBB13_581:
	s_or_b64 exec, exec, s[16:17]
	s_andn2_b64 s[16:17], s[22:23], exec
	s_and_b64 s[14:15], s[14:15], exec
	s_or_b64 s[22:23], s[16:17], s[14:15]
.LBB13_582:
	s_or_b64 exec, exec, s[24:25]
	s_xor_b64 s[14:15], s[22:23], -1
                                        ; implicit-def: $vgpr20_vgpr21
	s_and_saveexec_b64 s[16:17], s[14:15]
	s_xor_b64 s[14:15], exec, s[16:17]
	s_cbranch_execz .LBB13_584
; %bb.583:
	v_lshl_add_u32 v20, v49, 3, v40
	ds_read_b64 v[20:21], v20 offset:8
.LBB13_584:
	s_or_saveexec_b64 s[14:15], s[14:15]
	s_waitcnt lgkmcnt(0)
	v_pk_mov_b32 v[22:23], v[18:19], v[18:19] op_sel:[0,1]
	s_xor_b64 exec, exec, s[14:15]
	s_cbranch_execz .LBB13_586
; %bb.585:
	v_lshl_add_u32 v20, v48, 3, v40
	ds_read_b64 v[22:23], v20 offset:8
	v_pk_mov_b32 v[20:21], v[16:17], v[16:17] op_sel:[0,1]
.LBB13_586:
	s_or_b64 exec, exec, s[14:15]
	v_add_u32_e32 v25, 1, v48
	v_cndmask_b32_e64 v50, v48, v25, s[22:23]
	v_add_u32_e32 v24, 1, v49
	v_cmp_ge_i32_e64 s[14:15], v50, v43
                                        ; implicit-def: $sgpr24_sgpr25
	s_and_saveexec_b64 s[16:17], s[14:15]
	s_xor_b64 s[14:15], exec, s[16:17]
; %bb.587:
	s_mov_b64 s[24:25], 0
; %bb.588:
	s_or_saveexec_b64 s[26:27], s[14:15]
	v_cndmask_b32_e64 v51, v24, v49, s[22:23]
	s_xor_b64 exec, exec, s[26:27]
	s_cbranch_execz .LBB13_594
; %bb.589:
	v_cmp_lt_i32_e64 s[14:15], v51, v42
	s_waitcnt lgkmcnt(0)
	v_cmp_nlt_f32_e64 s[16:17], v22, v20
	s_and_b64 s[28:29], s[14:15], s[16:17]
	s_mov_b64 s[14:15], -1
	s_and_saveexec_b64 s[16:17], s[28:29]
	s_cbranch_execz .LBB13_593
; %bb.590:
	v_cmp_eq_f32_e64 s[14:15], v22, v20
	s_mov_b64 s[28:29], 0
	s_and_saveexec_b64 s[30:31], s[14:15]
; %bb.591:
	v_cmp_lt_f32_e64 s[14:15], v23, v21
	s_and_b64 s[28:29], s[14:15], exec
; %bb.592:
	s_or_b64 exec, exec, s[30:31]
	s_orn2_b64 s[14:15], s[28:29], exec
.LBB13_593:
	s_or_b64 exec, exec, s[16:17]
	s_andn2_b64 s[16:17], s[24:25], exec
	s_and_b64 s[14:15], s[14:15], exec
	s_or_b64 s[24:25], s[16:17], s[14:15]
.LBB13_594:
	s_or_b64 exec, exec, s[26:27]
	s_xor_b64 s[14:15], s[24:25], -1
                                        ; implicit-def: $vgpr24_vgpr25
	s_and_saveexec_b64 s[16:17], s[14:15]
	s_xor_b64 s[14:15], exec, s[16:17]
	s_cbranch_execz .LBB13_596
; %bb.595:
	v_lshl_add_u32 v24, v51, 3, v40
	ds_read_b64 v[24:25], v24 offset:8
.LBB13_596:
	s_or_saveexec_b64 s[14:15], s[14:15]
	s_waitcnt lgkmcnt(0)
	v_pk_mov_b32 v[26:27], v[22:23], v[22:23] op_sel:[0,1]
	s_xor_b64 exec, exec, s[14:15]
	s_cbranch_execz .LBB13_598
; %bb.597:
	v_lshl_add_u32 v24, v50, 3, v40
	ds_read_b64 v[26:27], v24 offset:8
	v_pk_mov_b32 v[24:25], v[20:21], v[20:21] op_sel:[0,1]
.LBB13_598:
	s_or_b64 exec, exec, s[14:15]
	v_add_u32_e32 v29, 1, v50
	v_cndmask_b32_e64 v52, v50, v29, s[24:25]
	v_add_u32_e32 v28, 1, v51
	v_cmp_ge_i32_e64 s[14:15], v52, v43
                                        ; implicit-def: $sgpr26_sgpr27
	s_and_saveexec_b64 s[16:17], s[14:15]
	s_xor_b64 s[14:15], exec, s[16:17]
; %bb.599:
	s_mov_b64 s[26:27], 0
; %bb.600:
	s_or_saveexec_b64 s[28:29], s[14:15]
	v_cndmask_b32_e64 v53, v28, v51, s[24:25]
	s_xor_b64 exec, exec, s[28:29]
	s_cbranch_execz .LBB13_606
; %bb.601:
	v_cmp_lt_i32_e64 s[14:15], v53, v42
	s_waitcnt lgkmcnt(0)
	v_cmp_nlt_f32_e64 s[16:17], v26, v24
	s_and_b64 s[30:31], s[14:15], s[16:17]
	s_mov_b64 s[14:15], -1
	s_and_saveexec_b64 s[16:17], s[30:31]
	s_cbranch_execz .LBB13_605
; %bb.602:
	v_cmp_eq_f32_e64 s[14:15], v26, v24
	s_mov_b64 s[30:31], 0
	s_and_saveexec_b64 s[34:35], s[14:15]
; %bb.603:
	v_cmp_lt_f32_e64 s[14:15], v27, v25
	s_and_b64 s[30:31], s[14:15], exec
; %bb.604:
	s_or_b64 exec, exec, s[34:35]
	s_orn2_b64 s[14:15], s[30:31], exec
.LBB13_605:
	s_or_b64 exec, exec, s[16:17]
	s_andn2_b64 s[16:17], s[26:27], exec
	s_and_b64 s[14:15], s[14:15], exec
	s_or_b64 s[26:27], s[16:17], s[14:15]
.LBB13_606:
	s_or_b64 exec, exec, s[28:29]
	s_xor_b64 s[14:15], s[26:27], -1
                                        ; implicit-def: $vgpr28_vgpr29
	s_and_saveexec_b64 s[16:17], s[14:15]
	s_xor_b64 s[14:15], exec, s[16:17]
	s_cbranch_execz .LBB13_608
; %bb.607:
	v_lshl_add_u32 v28, v53, 3, v40
	ds_read_b64 v[28:29], v28 offset:8
.LBB13_608:
	s_or_saveexec_b64 s[14:15], s[14:15]
	s_waitcnt lgkmcnt(0)
	v_pk_mov_b32 v[30:31], v[26:27], v[26:27] op_sel:[0,1]
	s_xor_b64 exec, exec, s[14:15]
	s_cbranch_execz .LBB13_610
; %bb.609:
	v_lshl_add_u32 v28, v52, 3, v40
	ds_read_b64 v[30:31], v28 offset:8
	v_pk_mov_b32 v[28:29], v[24:25], v[24:25] op_sel:[0,1]
.LBB13_610:
	s_or_b64 exec, exec, s[14:15]
	v_add_u32_e32 v33, 1, v52
	v_cndmask_b32_e64 v54, v52, v33, s[26:27]
	v_add_u32_e32 v32, 1, v53
	v_cmp_ge_i32_e64 s[14:15], v54, v43
                                        ; implicit-def: $sgpr28_sgpr29
	s_and_saveexec_b64 s[16:17], s[14:15]
	s_xor_b64 s[14:15], exec, s[16:17]
; %bb.611:
	s_mov_b64 s[28:29], 0
; %bb.612:
	s_or_saveexec_b64 s[30:31], s[14:15]
	v_cndmask_b32_e64 v55, v32, v53, s[26:27]
	s_xor_b64 exec, exec, s[30:31]
	s_cbranch_execz .LBB13_618
; %bb.613:
	v_cmp_lt_i32_e64 s[14:15], v55, v42
	s_waitcnt lgkmcnt(0)
	v_cmp_nlt_f32_e64 s[16:17], v30, v28
	s_and_b64 s[34:35], s[14:15], s[16:17]
	s_mov_b64 s[14:15], -1
	s_and_saveexec_b64 s[16:17], s[34:35]
	s_cbranch_execz .LBB13_617
; %bb.614:
	v_cmp_eq_f32_e64 s[14:15], v30, v28
	s_mov_b64 s[34:35], 0
	s_and_saveexec_b64 s[36:37], s[14:15]
; %bb.615:
	v_cmp_lt_f32_e64 s[14:15], v31, v29
	s_and_b64 s[34:35], s[14:15], exec
; %bb.616:
	s_or_b64 exec, exec, s[36:37]
	s_orn2_b64 s[14:15], s[34:35], exec
.LBB13_617:
	s_or_b64 exec, exec, s[16:17]
	s_andn2_b64 s[16:17], s[28:29], exec
	s_and_b64 s[14:15], s[14:15], exec
	s_or_b64 s[28:29], s[16:17], s[14:15]
.LBB13_618:
	s_or_b64 exec, exec, s[30:31]
	s_xor_b64 s[14:15], s[28:29], -1
                                        ; implicit-def: $vgpr32_vgpr33
	s_and_saveexec_b64 s[16:17], s[14:15]
	s_xor_b64 s[14:15], exec, s[16:17]
	s_cbranch_execz .LBB13_620
; %bb.619:
	v_lshl_add_u32 v32, v55, 3, v40
	ds_read_b64 v[32:33], v32 offset:8
.LBB13_620:
	s_or_saveexec_b64 s[14:15], s[14:15]
	s_waitcnt lgkmcnt(0)
	v_pk_mov_b32 v[34:35], v[30:31], v[30:31] op_sel:[0,1]
	s_xor_b64 exec, exec, s[14:15]
	s_cbranch_execz .LBB13_622
; %bb.621:
	v_lshl_add_u32 v32, v54, 3, v40
	ds_read_b64 v[34:35], v32 offset:8
	v_pk_mov_b32 v[32:33], v[28:29], v[28:29] op_sel:[0,1]
.LBB13_622:
	s_or_b64 exec, exec, s[14:15]
	v_add_u32_e32 v37, 1, v54
	v_cndmask_b32_e64 v56, v54, v37, s[28:29]
	v_add_u32_e32 v36, 1, v55
	v_cmp_ge_i32_e64 s[14:15], v56, v43
                                        ; implicit-def: $sgpr30_sgpr31
	s_and_saveexec_b64 s[16:17], s[14:15]
	s_xor_b64 s[14:15], exec, s[16:17]
; %bb.623:
	s_mov_b64 s[30:31], 0
; %bb.624:
	s_or_saveexec_b64 s[34:35], s[14:15]
	v_cndmask_b32_e64 v57, v36, v55, s[28:29]
	s_xor_b64 exec, exec, s[34:35]
	s_cbranch_execz .LBB13_630
; %bb.625:
	v_cmp_lt_i32_e64 s[14:15], v57, v42
	s_waitcnt lgkmcnt(0)
	v_cmp_nlt_f32_e64 s[16:17], v34, v32
	s_and_b64 s[36:37], s[14:15], s[16:17]
	s_mov_b64 s[14:15], -1
	s_and_saveexec_b64 s[16:17], s[36:37]
	s_cbranch_execz .LBB13_629
; %bb.626:
	v_cmp_eq_f32_e64 s[14:15], v34, v32
	s_mov_b64 s[36:37], 0
	s_and_saveexec_b64 s[38:39], s[14:15]
; %bb.627:
	v_cmp_lt_f32_e64 s[14:15], v35, v33
	s_and_b64 s[36:37], s[14:15], exec
; %bb.628:
	s_or_b64 exec, exec, s[38:39]
	s_orn2_b64 s[14:15], s[36:37], exec
.LBB13_629:
	s_or_b64 exec, exec, s[16:17]
	s_andn2_b64 s[16:17], s[30:31], exec
	s_and_b64 s[14:15], s[14:15], exec
	s_or_b64 s[30:31], s[16:17], s[14:15]
.LBB13_630:
	s_or_b64 exec, exec, s[34:35]
	s_xor_b64 s[14:15], s[30:31], -1
                                        ; implicit-def: $vgpr36_vgpr37
	s_and_saveexec_b64 s[16:17], s[14:15]
	s_xor_b64 s[14:15], exec, s[16:17]
	s_cbranch_execz .LBB13_632
; %bb.631:
	v_lshl_add_u32 v36, v57, 3, v40
	ds_read_b64 v[36:37], v36 offset:8
.LBB13_632:
	s_or_saveexec_b64 s[14:15], s[14:15]
	s_waitcnt lgkmcnt(0)
	v_pk_mov_b32 v[38:39], v[34:35], v[34:35] op_sel:[0,1]
	s_xor_b64 exec, exec, s[14:15]
	s_cbranch_execz .LBB13_634
; %bb.633:
	v_lshl_add_u32 v36, v56, 3, v40
	ds_read_b64 v[38:39], v36 offset:8
	v_pk_mov_b32 v[36:37], v[32:33], v[32:33] op_sel:[0,1]
.LBB13_634:
	s_or_b64 exec, exec, s[14:15]
	v_add_u32_e32 v58, 1, v56
	v_add_u32_e32 v59, 1, v57
	v_cndmask_b32_e64 v58, v56, v58, s[30:31]
	v_cndmask_b32_e64 v59, v59, v57, s[30:31]
	v_cmp_lt_i32_e64 s[14:15], v58, v43
	s_mov_b64 s[16:17], 0
	s_and_saveexec_b64 s[34:35], s[14:15]
	s_cbranch_execz .LBB13_640
; %bb.635:
	v_cmp_lt_i32_e64 s[14:15], v59, v42
	s_waitcnt lgkmcnt(0)
	v_cmp_nlt_f32_e64 s[16:17], v38, v36
	s_and_b64 s[36:37], s[14:15], s[16:17]
	s_mov_b64 s[14:15], -1
	s_and_saveexec_b64 s[16:17], s[36:37]
	s_cbranch_execz .LBB13_639
; %bb.636:
	v_cmp_eq_f32_e64 s[14:15], v38, v36
	s_mov_b64 s[36:37], 0
	s_and_saveexec_b64 s[38:39], s[14:15]
; %bb.637:
	v_cmp_lt_f32_e64 s[14:15], v39, v37
	s_and_b64 s[36:37], s[14:15], exec
; %bb.638:
	s_or_b64 exec, exec, s[38:39]
	s_orn2_b64 s[14:15], s[36:37], exec
.LBB13_639:
	s_or_b64 exec, exec, s[16:17]
	s_and_b64 s[16:17], s[14:15], exec
.LBB13_640:
	s_or_b64 exec, exec, s[34:35]
	v_cndmask_b32_e64 v50, v51, v50, s[24:25]
	v_cndmask_b32_e64 v48, v49, v48, s[22:23]
	;; [unrolled: 1-line block ×8, first 2 shown]
	; wave barrier
	ds_write2_b64 v41, v[2:3], v[6:7] offset1:1
	ds_write2_b64 v41, v[0:1], v[4:5] offset0:2 offset1:3
	v_lshl_add_u32 v0, v44, 2, v40
	v_lshl_add_u32 v1, v46, 2, v40
	;; [unrolled: 1-line block ×4, first 2 shown]
	; wave barrier
	v_lshl_add_u32 v41, v52, 2, v40
	v_lshl_add_u32 v43, v43, 2, v40
	;; [unrolled: 1-line block ×4, first 2 shown]
	ds_read_b32 v7, v0
	ds_read_b32 v6, v1
	ds_read_b32 v5, v2
	ds_read_b32 v4, v3
	ds_read_b32 v3, v41
	ds_read_b32 v2, v43
	ds_read_b32 v1, v42
	ds_read_b32 v0, v40
	s_and_saveexec_b64 s[14:15], vcc
	s_cbranch_execnz .LBB13_657
; %bb.641:
	s_or_b64 exec, exec, s[14:15]
	s_and_saveexec_b64 s[14:15], s[0:1]
	s_cbranch_execnz .LBB13_658
.LBB13_642:
	s_or_b64 exec, exec, s[14:15]
	s_and_saveexec_b64 s[14:15], s[2:3]
	s_cbranch_execnz .LBB13_659
.LBB13_643:
	s_or_b64 exec, exec, s[14:15]
	s_and_saveexec_b64 s[14:15], s[4:5]
	s_cbranch_execnz .LBB13_660
.LBB13_644:
	s_or_b64 exec, exec, s[14:15]
	s_and_saveexec_b64 s[14:15], s[6:7]
	s_cbranch_execnz .LBB13_661
.LBB13_645:
	s_or_b64 exec, exec, s[14:15]
	s_and_saveexec_b64 s[14:15], s[8:9]
	s_cbranch_execnz .LBB13_662
.LBB13_646:
	s_or_b64 exec, exec, s[14:15]
	s_and_saveexec_b64 s[14:15], s[10:11]
	s_cbranch_execnz .LBB13_663
.LBB13_647:
	s_or_b64 exec, exec, s[14:15]
	s_and_saveexec_b64 s[14:15], s[12:13]
	s_cbranch_execnz .LBB13_664
.LBB13_648:
	s_or_b64 exec, exec, s[14:15]
	s_and_saveexec_b64 s[14:15], vcc
	s_cbranch_execnz .LBB13_665
.LBB13_649:
	s_or_b64 exec, exec, s[14:15]
	s_and_saveexec_b64 s[14:15], s[0:1]
	s_cbranch_execnz .LBB13_666
.LBB13_650:
	s_or_b64 exec, exec, s[14:15]
	s_and_saveexec_b64 s[0:1], s[2:3]
	s_cbranch_execnz .LBB13_667
.LBB13_651:
	s_or_b64 exec, exec, s[0:1]
	s_and_saveexec_b64 s[0:1], s[4:5]
	s_cbranch_execnz .LBB13_668
.LBB13_652:
	s_or_b64 exec, exec, s[0:1]
	s_and_saveexec_b64 s[0:1], s[6:7]
	s_cbranch_execnz .LBB13_669
.LBB13_653:
	s_or_b64 exec, exec, s[0:1]
	s_and_saveexec_b64 s[0:1], s[8:9]
	s_cbranch_execnz .LBB13_670
.LBB13_654:
	s_or_b64 exec, exec, s[0:1]
	s_and_saveexec_b64 s[0:1], s[10:11]
	s_cbranch_execnz .LBB13_671
.LBB13_655:
	s_or_b64 exec, exec, s[0:1]
	s_and_saveexec_b64 s[0:1], s[12:13]
	s_cbranch_execnz .LBB13_672
.LBB13_656:
	s_endpgm
.LBB13_657:
	v_cndmask_b32_e64 v8, v8, v10, s[18:19]
	v_cndmask_b32_e64 v9, v9, v11, s[18:19]
	global_store_dwordx2 v[78:79], v[8:9], off
	s_or_b64 exec, exec, s[14:15]
	s_and_saveexec_b64 s[14:15], s[0:1]
	s_cbranch_execz .LBB13_642
.LBB13_658:
	v_cndmask_b32_e64 v8, v12, v14, s[20:21]
	v_cndmask_b32_e64 v9, v13, v15, s[20:21]
	global_store_dwordx2 v[78:79], v[8:9], off offset:8
	s_or_b64 exec, exec, s[14:15]
	s_and_saveexec_b64 s[14:15], s[2:3]
	s_cbranch_execz .LBB13_643
.LBB13_659:
	v_cndmask_b32_e64 v8, v16, v18, s[22:23]
	v_cndmask_b32_e64 v9, v17, v19, s[22:23]
	global_store_dwordx2 v[78:79], v[8:9], off offset:16
	s_or_b64 exec, exec, s[14:15]
	s_and_saveexec_b64 s[14:15], s[4:5]
	s_cbranch_execz .LBB13_644
.LBB13_660:
	v_cndmask_b32_e64 v8, v20, v22, s[24:25]
	v_cndmask_b32_e64 v9, v21, v23, s[24:25]
	global_store_dwordx2 v[78:79], v[8:9], off offset:24
	s_or_b64 exec, exec, s[14:15]
	s_and_saveexec_b64 s[14:15], s[6:7]
	s_cbranch_execz .LBB13_645
.LBB13_661:
	v_cndmask_b32_e64 v8, v24, v26, s[26:27]
	v_cndmask_b32_e64 v9, v25, v27, s[26:27]
	global_store_dwordx2 v[78:79], v[8:9], off offset:32
	s_or_b64 exec, exec, s[14:15]
	s_and_saveexec_b64 s[14:15], s[8:9]
	s_cbranch_execz .LBB13_646
.LBB13_662:
	v_cndmask_b32_e64 v8, v28, v30, s[28:29]
	v_cndmask_b32_e64 v9, v29, v31, s[28:29]
	global_store_dwordx2 v[78:79], v[8:9], off offset:40
	s_or_b64 exec, exec, s[14:15]
	s_and_saveexec_b64 s[14:15], s[10:11]
	s_cbranch_execz .LBB13_647
.LBB13_663:
	v_cndmask_b32_e64 v8, v32, v34, s[30:31]
	v_cndmask_b32_e64 v9, v33, v35, s[30:31]
	global_store_dwordx2 v[78:79], v[8:9], off offset:48
	s_or_b64 exec, exec, s[14:15]
	s_and_saveexec_b64 s[14:15], s[12:13]
	s_cbranch_execz .LBB13_648
.LBB13_664:
	s_waitcnt lgkmcnt(10)
	v_cndmask_b32_e64 v9, v37, v39, s[16:17]
	v_cndmask_b32_e64 v8, v36, v38, s[16:17]
	global_store_dwordx2 v[78:79], v[8:9], off offset:56
	s_or_b64 exec, exec, s[14:15]
	s_and_saveexec_b64 s[14:15], vcc
	s_cbranch_execz .LBB13_649
.LBB13_665:
	s_waitcnt lgkmcnt(7)
	global_store_dword v[80:81], v7, off
	s_or_b64 exec, exec, s[14:15]
	s_and_saveexec_b64 s[14:15], s[0:1]
	s_cbranch_execz .LBB13_650
.LBB13_666:
	s_waitcnt lgkmcnt(6)
	global_store_dword v[80:81], v6, off offset:4
	s_or_b64 exec, exec, s[14:15]
	s_and_saveexec_b64 s[0:1], s[2:3]
	s_cbranch_execz .LBB13_651
.LBB13_667:
	s_waitcnt lgkmcnt(5)
	global_store_dword v[80:81], v5, off offset:8
	s_or_b64 exec, exec, s[0:1]
	s_and_saveexec_b64 s[0:1], s[4:5]
	s_cbranch_execz .LBB13_652
.LBB13_668:
	s_waitcnt lgkmcnt(4)
	global_store_dword v[80:81], v4, off offset:12
	s_or_b64 exec, exec, s[0:1]
	s_and_saveexec_b64 s[0:1], s[6:7]
	s_cbranch_execz .LBB13_653
.LBB13_669:
	s_waitcnt lgkmcnt(3)
	global_store_dword v[80:81], v3, off offset:16
	s_or_b64 exec, exec, s[0:1]
	s_and_saveexec_b64 s[0:1], s[8:9]
	s_cbranch_execz .LBB13_654
.LBB13_670:
	s_waitcnt lgkmcnt(2)
	global_store_dword v[80:81], v2, off offset:20
	s_or_b64 exec, exec, s[0:1]
	s_and_saveexec_b64 s[0:1], s[10:11]
	s_cbranch_execz .LBB13_655
.LBB13_671:
	s_waitcnt lgkmcnt(1)
	global_store_dword v[80:81], v1, off offset:24
	s_or_b64 exec, exec, s[0:1]
	s_and_saveexec_b64 s[0:1], s[12:13]
	s_cbranch_execz .LBB13_656
.LBB13_672:
	s_waitcnt lgkmcnt(0)
	global_store_dword v[80:81], v0, off offset:28
	s_endpgm
	.section	.rodata,"a",@progbits
	.p2align	6, 0x0
	.amdhsa_kernel _Z26sort_keys_values_segmentedILj256ELj32ELj8ELb0EN10test_utils16custom_test_typeIfEEiNS0_4lessEEvPT3_PT4_PKjT5_
		.amdhsa_group_segment_fixed_size 16448
		.amdhsa_private_segment_fixed_size 0
		.amdhsa_kernarg_size 28
		.amdhsa_user_sgpr_count 6
		.amdhsa_user_sgpr_private_segment_buffer 1
		.amdhsa_user_sgpr_dispatch_ptr 0
		.amdhsa_user_sgpr_queue_ptr 0
		.amdhsa_user_sgpr_kernarg_segment_ptr 1
		.amdhsa_user_sgpr_dispatch_id 0
		.amdhsa_user_sgpr_flat_scratch_init 0
		.amdhsa_user_sgpr_kernarg_preload_length 0
		.amdhsa_user_sgpr_kernarg_preload_offset 0
		.amdhsa_user_sgpr_private_segment_size 0
		.amdhsa_uses_dynamic_stack 0
		.amdhsa_system_sgpr_private_segment_wavefront_offset 0
		.amdhsa_system_sgpr_workgroup_id_x 1
		.amdhsa_system_sgpr_workgroup_id_y 0
		.amdhsa_system_sgpr_workgroup_id_z 0
		.amdhsa_system_sgpr_workgroup_info 0
		.amdhsa_system_vgpr_workitem_id 0
		.amdhsa_next_free_vgpr 106
		.amdhsa_next_free_sgpr 40
		.amdhsa_accum_offset 108
		.amdhsa_reserve_vcc 1
		.amdhsa_reserve_flat_scratch 0
		.amdhsa_float_round_mode_32 0
		.amdhsa_float_round_mode_16_64 0
		.amdhsa_float_denorm_mode_32 3
		.amdhsa_float_denorm_mode_16_64 3
		.amdhsa_dx10_clamp 1
		.amdhsa_ieee_mode 1
		.amdhsa_fp16_overflow 0
		.amdhsa_tg_split 0
		.amdhsa_exception_fp_ieee_invalid_op 0
		.amdhsa_exception_fp_denorm_src 0
		.amdhsa_exception_fp_ieee_div_zero 0
		.amdhsa_exception_fp_ieee_overflow 0
		.amdhsa_exception_fp_ieee_underflow 0
		.amdhsa_exception_fp_ieee_inexact 0
		.amdhsa_exception_int_div_zero 0
	.end_amdhsa_kernel
	.section	.text._Z26sort_keys_values_segmentedILj256ELj32ELj8ELb0EN10test_utils16custom_test_typeIfEEiNS0_4lessEEvPT3_PT4_PKjT5_,"axG",@progbits,_Z26sort_keys_values_segmentedILj256ELj32ELj8ELb0EN10test_utils16custom_test_typeIfEEiNS0_4lessEEvPT3_PT4_PKjT5_,comdat
.Lfunc_end13:
	.size	_Z26sort_keys_values_segmentedILj256ELj32ELj8ELb0EN10test_utils16custom_test_typeIfEEiNS0_4lessEEvPT3_PT4_PKjT5_, .Lfunc_end13-_Z26sort_keys_values_segmentedILj256ELj32ELj8ELb0EN10test_utils16custom_test_typeIfEEiNS0_4lessEEvPT3_PT4_PKjT5_
                                        ; -- End function
	.section	.AMDGPU.csdata,"",@progbits
; Kernel info:
; codeLenInByte = 21672
; NumSgprs: 44
; NumVgprs: 106
; NumAgprs: 0
; TotalNumVgprs: 106
; ScratchSize: 0
; MemoryBound: 0
; FloatMode: 240
; IeeeMode: 1
; LDSByteSize: 16448 bytes/workgroup (compile time only)
; SGPRBlocks: 5
; VGPRBlocks: 13
; NumSGPRsForWavesPerEU: 44
; NumVGPRsForWavesPerEU: 106
; AccumOffset: 108
; Occupancy: 3
; WaveLimiterHint : 0
; COMPUTE_PGM_RSRC2:SCRATCH_EN: 0
; COMPUTE_PGM_RSRC2:USER_SGPR: 6
; COMPUTE_PGM_RSRC2:TRAP_HANDLER: 0
; COMPUTE_PGM_RSRC2:TGID_X_EN: 1
; COMPUTE_PGM_RSRC2:TGID_Y_EN: 0
; COMPUTE_PGM_RSRC2:TGID_Z_EN: 0
; COMPUTE_PGM_RSRC2:TIDIG_COMP_CNT: 0
; COMPUTE_PGM_RSRC3_GFX90A:ACCUM_OFFSET: 26
; COMPUTE_PGM_RSRC3_GFX90A:TG_SPLIT: 0
	.section	.text._Z26sort_keys_values_segmentedILj256ELj32ELj4ELb0EN10test_utils16custom_test_typeIfEEiNS0_4lessEEvPT3_PT4_PKjT5_,"axG",@progbits,_Z26sort_keys_values_segmentedILj256ELj32ELj4ELb0EN10test_utils16custom_test_typeIfEEiNS0_4lessEEvPT3_PT4_PKjT5_,comdat
	.protected	_Z26sort_keys_values_segmentedILj256ELj32ELj4ELb0EN10test_utils16custom_test_typeIfEEiNS0_4lessEEvPT3_PT4_PKjT5_ ; -- Begin function _Z26sort_keys_values_segmentedILj256ELj32ELj4ELb0EN10test_utils16custom_test_typeIfEEiNS0_4lessEEvPT3_PT4_PKjT5_
	.globl	_Z26sort_keys_values_segmentedILj256ELj32ELj4ELb0EN10test_utils16custom_test_typeIfEEiNS0_4lessEEvPT3_PT4_PKjT5_
	.p2align	8
	.type	_Z26sort_keys_values_segmentedILj256ELj32ELj4ELb0EN10test_utils16custom_test_typeIfEEiNS0_4lessEEvPT3_PT4_PKjT5_,@function
_Z26sort_keys_values_segmentedILj256ELj32ELj4ELb0EN10test_utils16custom_test_typeIfEEiNS0_4lessEEvPT3_PT4_PKjT5_: ; @_Z26sort_keys_values_segmentedILj256ELj32ELj4ELb0EN10test_utils16custom_test_typeIfEEiNS0_4lessEEvPT3_PT4_PKjT5_
; %bb.0:
	s_load_dwordx2 s[0:1], s[4:5], 0x10
	v_lshrrev_b32_e32 v38, 5, v0
	v_lshl_or_b32 v0, s6, 3, v38
	v_mov_b32_e32 v1, 0
	v_lshlrev_b64 v[2:3], 2, v[0:1]
	s_waitcnt lgkmcnt(0)
	v_mov_b32_e32 v4, s1
	v_add_co_u32_e32 v2, vcc, s0, v2
	v_addc_co_u32_e32 v3, vcc, v4, v3, vcc
	global_load_dword v34, v[2:3], off
	s_load_dwordx4 s[4:7], s[4:5], 0x0
	v_mbcnt_lo_u32_b32 v2, -1, 0
	v_mbcnt_hi_u32_b32 v2, -1, v2
	v_lshlrev_b32_e32 v0, 7, v0
	v_lshlrev_b32_e32 v36, 2, v2
	v_lshlrev_b64 v[2:3], 3, v[0:1]
	v_and_b32_e32 v35, 0x7c, v36
	s_waitcnt lgkmcnt(0)
	v_mov_b32_e32 v4, s5
	v_add_co_u32_e32 v2, vcc, s4, v2
	v_lshlrev_b32_e32 v39, 3, v35
	v_addc_co_u32_e32 v3, vcc, v4, v3, vcc
	s_mov_b32 s2, 0
	v_add_co_u32_e32 v18, vcc, v2, v39
	s_mov_b32 s3, s2
	v_addc_co_u32_e32 v19, vcc, 0, v3, vcc
	v_pk_mov_b32 v[22:23], s[2:3], s[2:3] op_sel:[0,1]
	s_waitcnt vmcnt(0)
	v_cmp_lt_u32_e32 vcc, v35, v34
	s_and_saveexec_b64 s[0:1], vcc
	s_cbranch_execz .LBB14_2
; %bb.1:
	global_load_dwordx2 v[22:23], v[18:19], off
.LBB14_2:
	s_or_b64 exec, exec, s[0:1]
	v_or_b32_e32 v16, 1, v35
	v_cmp_lt_u32_e64 s[0:1], v16, v34
	v_pk_mov_b32 v[14:15], s[2:3], s[2:3] op_sel:[0,1]
	s_and_saveexec_b64 s[2:3], s[0:1]
	s_cbranch_execz .LBB14_4
; %bb.3:
	global_load_dwordx2 v[14:15], v[18:19], off offset:8
.LBB14_4:
	s_or_b64 exec, exec, s[2:3]
	v_or_b32_e32 v13, 2, v35
	v_cmp_lt_u32_e64 s[2:3], v13, v34
	v_mov_b32_e32 v4, 0
	v_mov_b32_e32 v10, 0
	;; [unrolled: 1-line block ×3, first 2 shown]
	s_and_saveexec_b64 s[4:5], s[2:3]
	s_cbranch_execz .LBB14_6
; %bb.5:
	global_load_dwordx2 v[10:11], v[18:19], off offset:16
.LBB14_6:
	s_or_b64 exec, exec, s[4:5]
	v_or_b32_e32 v6, 3, v35
	v_cmp_lt_u32_e64 s[4:5], v6, v34
	v_mov_b32_e32 v5, 0
	s_and_saveexec_b64 s[8:9], s[4:5]
	s_cbranch_execz .LBB14_8
; %bb.7:
	global_load_dwordx2 v[4:5], v[18:19], off offset:24
.LBB14_8:
	s_or_b64 exec, exec, s[8:9]
	v_lshlrev_b64 v[0:1], 2, v[0:1]
	v_mov_b32_e32 v2, s7
	v_add_co_u32_e64 v0, s[6:7], s6, v0
	v_addc_co_u32_e64 v1, s[6:7], v2, v1, s[6:7]
	v_lshlrev_b32_e32 v37, 2, v35
	v_add_co_u32_e64 v20, s[6:7], v0, v37
	v_addc_co_u32_e64 v21, s[6:7], 0, v1, s[6:7]
                                        ; implicit-def: $vgpr8
	s_and_saveexec_b64 s[6:7], vcc
	s_cbranch_execz .LBB14_10
; %bb.9:
	global_load_dword v8, v[20:21], off
.LBB14_10:
	s_or_b64 exec, exec, s[6:7]
	s_waitcnt vmcnt(0)
	v_pk_mov_b32 v[0:1], v[8:9], v[8:9] op_sel:[0,1]
	v_pk_mov_b32 v[2:3], v[10:11], v[10:11] op_sel:[0,1]
	s_and_saveexec_b64 s[6:7], s[0:1]
	s_cbranch_execnz .LBB14_53
; %bb.11:
	s_or_b64 exec, exec, s[6:7]
                                        ; implicit-def: $vgpr12
	s_and_saveexec_b64 s[6:7], s[2:3]
	s_cbranch_execnz .LBB14_54
.LBB14_12:
	s_or_b64 exec, exec, s[6:7]
                                        ; implicit-def: $vgpr7
	s_and_saveexec_b64 s[6:7], s[4:5]
	s_cbranch_execz .LBB14_14
.LBB14_13:
	global_load_dword v3, v[20:21], off offset:12
	s_waitcnt vmcnt(0)
	v_mov_b32_e32 v7, v3
.LBB14_14:
	s_or_b64 exec, exec, s[6:7]
	s_getpc_b64 s[6:7]
	s_add_u32 s6, s6, _ZN9sort_lastIN10test_utils4lessENS0_16custom_test_typeIfEEE5valueE@rel32@lo+4
	s_addc_u32 s7, s7, _ZN9sort_lastIN10test_utils4lessENS0_16custom_test_typeIfEEE5valueE@rel32@hi+12
	s_load_dwordx2 s[8:9], s[6:7], 0x0
	v_cmp_lt_i32_e64 s[6:7], v16, v34
	s_waitcnt lgkmcnt(0)
	v_pk_mov_b32 v[32:33], s[8:9], s[8:9] op_sel:[0,1]
	v_mov_b32_e32 v16, s8
	v_mov_b32_e32 v17, s9
	s_and_saveexec_b64 s[10:11], s[6:7]
	s_cbranch_execz .LBB14_20
; %bb.15:
	v_cmp_nlt_f32_e64 s[6:7], s8, v14
	s_mov_b64 s[14:15], -1
	s_and_saveexec_b64 s[12:13], s[6:7]
	s_cbranch_execz .LBB14_19
; %bb.16:
	v_cmp_eq_f32_e64 s[6:7], s8, v14
	s_mov_b64 s[14:15], 0
	s_and_saveexec_b64 s[16:17], s[6:7]
; %bb.17:
	v_cmp_lt_f32_e64 s[6:7], s9, v15
	s_and_b64 s[14:15], s[6:7], exec
; %bb.18:
	s_or_b64 exec, exec, s[16:17]
	s_orn2_b64 s[14:15], s[14:15], exec
.LBB14_19:
	s_or_b64 exec, exec, s[12:13]
	v_mov_b32_e32 v16, s8
	v_mov_b32_e32 v17, s9
	v_cndmask_b32_e64 v16, v16, v14, s[14:15]
	v_cndmask_b32_e64 v17, v17, v15, s[14:15]
	v_pk_mov_b32 v[32:33], v[14:15], v[14:15] op_sel:[0,1]
.LBB14_20:
	s_or_b64 exec, exec, s[10:11]
	v_cmp_lt_i32_e64 s[6:7], v13, v34
	v_mov_b32_e32 v31, v16
	v_mov_b32_e32 v28, v17
	s_and_saveexec_b64 s[8:9], s[6:7]
	s_cbranch_execz .LBB14_26
; %bb.21:
	v_cmp_nlt_f32_e64 s[6:7], v16, v10
	s_mov_b64 s[12:13], -1
	s_and_saveexec_b64 s[10:11], s[6:7]
	s_cbranch_execz .LBB14_25
; %bb.22:
	v_cmp_eq_f32_e64 s[6:7], v16, v10
	s_mov_b64 s[12:13], 0
	s_and_saveexec_b64 s[14:15], s[6:7]
; %bb.23:
	v_cmp_lt_f32_e64 s[6:7], v17, v11
	s_and_b64 s[12:13], s[6:7], exec
; %bb.24:
	s_or_b64 exec, exec, s[14:15]
	s_orn2_b64 s[12:13], s[12:13], exec
.LBB14_25:
	s_or_b64 exec, exec, s[10:11]
	v_cndmask_b32_e64 v16, v16, v10, s[12:13]
	v_cndmask_b32_e64 v17, v17, v11, s[12:13]
	v_mov_b32_e32 v31, v10
	v_mov_b32_e32 v28, v11
.LBB14_26:
	s_or_b64 exec, exec, s[8:9]
	v_cmp_lt_i32_e64 s[6:7], v6, v34
	v_cndmask_b32_e64 v40, v17, v5, s[6:7]
	v_cndmask_b32_e64 v29, v16, v4, s[6:7]
	v_cmp_ge_i32_e64 s[6:7], v35, v34
                                        ; implicit-def: $vgpr24_vgpr25
                                        ; implicit-def: $vgpr26_vgpr27
	s_and_saveexec_b64 s[8:9], s[6:7]
	s_xor_b64 s[6:7], exec, s[8:9]
; %bb.27:
	v_mov_b32_e32 v24, v23
	v_mov_b32_e32 v25, v32
	;; [unrolled: 1-line block ×3, first 2 shown]
                                        ; implicit-def: $vgpr8
                                        ; implicit-def: $vgpr12
                                        ; implicit-def: $vgpr7
                                        ; implicit-def: $vgpr32_vgpr33
; %bb.28:
	s_andn2_saveexec_b64 s[12:13], s[6:7]
	s_cbranch_execz .LBB14_46
; %bb.29:
	v_cmp_eq_f32_e64 s[8:9], v32, v22
	v_cmp_lt_f32_e64 s[10:11], v33, v23
	v_cmp_lt_f32_e64 s[6:7], v32, v22
	s_and_b64 s[8:9], s[8:9], s[10:11]
	v_pk_mov_b32 v[16:17], v[10:11], v[10:11] op_sel:[0,1]
	s_or_b64 s[8:9], s[6:7], s[8:9]
	v_pk_mov_b32 v[14:15], v[8:9], v[8:9] op_sel:[0,1]
	v_mov_b32_e32 v26, v33
	v_mov_b32_e32 v25, v32
	;; [unrolled: 1-line block ×3, first 2 shown]
	s_and_saveexec_b64 s[6:7], s[8:9]
	s_cbranch_execz .LBB14_31
; %bb.30:
	v_mov_b32_e32 v10, v9
	v_mov_b32_e32 v11, v8
	;; [unrolled: 1-line block ×3, first 2 shown]
	v_pk_mov_b32 v[0:1], v[10:11], v[10:11] op_sel:[0,1]
	v_pk_mov_b32 v[16:17], v[12:13], v[12:13] op_sel:[0,1]
	;; [unrolled: 1-line block ×4, first 2 shown]
	v_mov_b32_e32 v26, v23
	v_mov_b32_e32 v25, v22
	v_pk_mov_b32 v[22:23], v[32:33], v[32:33] op_sel:[0,1]
	v_mov_b32_e32 v5, v9
	v_mov_b32_e32 v9, v8
.LBB14_31:
	s_or_b64 exec, exec, s[6:7]
	v_cmp_lt_f32_e64 s[10:11], v29, v31
	v_cmp_nlt_f32_e64 s[6:7], v29, v31
	s_and_saveexec_b64 s[14:15], s[6:7]
; %bb.32:
	v_cmp_eq_f32_e64 s[6:7], v29, v31
	v_cmp_lt_f32_e64 s[8:9], v40, v28
	s_and_b64 s[6:7], s[6:7], s[8:9]
	s_andn2_b64 s[8:9], s[10:11], exec
	s_and_b64 s[6:7], s[6:7], exec
	s_or_b64 s[10:11], s[8:9], s[6:7]
; %bb.33:
	s_or_b64 exec, exec, s[14:15]
	v_mov_b32_e32 v32, v40
	v_mov_b32_e32 v11, v29
	;; [unrolled: 1-line block ×3, first 2 shown]
	s_and_saveexec_b64 s[6:7], s[10:11]
; %bb.34:
	v_mov_b32_e32 v2, v7
	v_mov_b32_e32 v3, v12
	;; [unrolled: 1-line block ×8, first 2 shown]
; %bb.35:
	s_or_b64 exec, exec, s[6:7]
	v_cmp_nlt_f32_e64 s[6:7], v31, v25
	s_mov_b64 s[8:9], -1
	s_and_saveexec_b64 s[10:11], s[6:7]
	s_xor_b64 s[10:11], exec, s[10:11]
; %bb.36:
	v_cmp_eq_f32_e64 s[6:7], v31, v25
	v_cmp_lt_f32_e64 s[8:9], v28, v26
	s_and_b64 s[6:7], s[6:7], s[8:9]
	s_orn2_b64 s[8:9], s[6:7], exec
; %bb.37:
	s_or_b64 exec, exec, s[10:11]
	v_mov_b32_e32 v10, v28
	v_mov_b32_e32 v33, v31
	;; [unrolled: 1-line block ×3, first 2 shown]
	s_and_saveexec_b64 s[6:7], s[8:9]
; %bb.38:
	v_pk_mov_b32 v[0:1], v[14:15], v[14:15] op_sel:[0,1]
	v_pk_mov_b32 v[2:3], v[16:17], v[16:17] op_sel:[0,1]
	v_mov_b32_e32 v1, v6
	v_mov_b32_e32 v2, v9
	;; [unrolled: 1-line block ×9, first 2 shown]
; %bb.39:
	s_or_b64 exec, exec, s[6:7]
	v_cmp_eq_f32_e64 s[8:9], v25, v22
	v_cmp_lt_f32_e64 s[10:11], v26, v23
	v_cmp_lt_f32_e64 s[6:7], v25, v22
	s_and_b64 s[8:9], s[8:9], s[10:11]
	v_mov_b32_e32 v24, v23
	s_or_b64 s[8:9], s[6:7], s[8:9]
	s_and_saveexec_b64 s[6:7], s[8:9]
; %bb.40:
	v_mov_b32_e32 v27, v22
	v_pk_mov_b32 v[8:9], v[26:27], v[26:27] op_sel:[0,1]
	v_pk_mov_b32 v[0:1], v[4:5], v[4:5] op_sel:[0,1]
	;; [unrolled: 1-line block ×5, first 2 shown]
	v_mov_b32_e32 v26, v23
	v_mov_b32_e32 v22, v25
	v_pk_mov_b32 v[24:25], v[8:9], v[8:9] op_sel:[0,1]
	v_mov_b32_e32 v4, v5
; %bb.41:
	s_or_b64 exec, exec, s[6:7]
	v_cmp_eq_f32_e64 s[8:9], v11, v33
	v_cmp_lt_f32_e64 s[10:11], v32, v10
	v_cmp_lt_f32_e64 s[6:7], v11, v33
	s_and_b64 s[8:9], s[8:9], s[10:11]
	s_or_b64 s[8:9], s[6:7], s[8:9]
	v_pk_mov_b32 v[28:29], v[10:11], v[10:11] op_sel:[0,1]
	v_pk_mov_b32 v[8:9], v[10:11], v[10:11] op_sel:[0,1]
	v_mov_b32_e32 v40, v32
	v_mov_b32_e32 v31, v33
	;; [unrolled: 1-line block ×3, first 2 shown]
	s_and_saveexec_b64 s[6:7], s[8:9]
; %bb.42:
	v_mov_b32_e32 v2, v7
	v_mov_b32_e32 v3, v6
	v_pk_mov_b32 v[28:29], v[32:33], v[32:33] op_sel:[0,1]
	v_pk_mov_b32 v[8:9], v[32:33], v[32:33] op_sel:[0,1]
	v_mov_b32_e32 v40, v10
	v_mov_b32_e32 v31, v11
	;; [unrolled: 1-line block ×6, first 2 shown]
; %bb.43:
	s_or_b64 exec, exec, s[6:7]
	v_cmp_eq_f32_e64 s[8:9], v31, v25
	v_cmp_lt_f32_e64 s[10:11], v10, v26
	v_cmp_lt_f32_e64 s[6:7], v31, v25
	s_and_b64 s[8:9], s[8:9], s[10:11]
	s_or_b64 s[8:9], s[6:7], s[8:9]
	s_and_saveexec_b64 s[6:7], s[8:9]
; %bb.44:
	v_mov_b32_e32 v30, v24
	v_pk_mov_b32 v[0:1], v[30:31], v[30:31] op_sel:[0,1]
	v_mov_b32_e32 v27, v11
	v_mov_b32_e32 v16, v4
	;; [unrolled: 1-line block ×4, first 2 shown]
	v_pk_mov_b32 v[24:25], v[0:1], v[0:1] op_sel:[0,1]
	v_pk_mov_b32 v[0:1], v[14:15], v[14:15] op_sel:[0,1]
	;; [unrolled: 1-line block ×5, first 2 shown]
; %bb.45:
	s_or_b64 exec, exec, s[6:7]
.LBB14_46:
	s_or_b64 exec, exec, s[12:13]
	v_and_b32_e32 v5, 0x78, v36
	s_movk_i32 s6, 0x408
	v_min_i32_e32 v8, v34, v5
	v_mad_u32_u24 v30, v38, s6, v39
	v_add_u32_e32 v5, 4, v8
	; wave barrier
	ds_write2_b32 v30, v24, v25 offset0:1 offset1:2
	ds_write2_b32 v30, v26, v31 offset0:3 offset1:4
	;; [unrolled: 1-line block ×3, first 2 shown]
	ds_write2_b32 v30, v22, v40 offset1:7
	v_min_i32_e32 v24, v34, v5
	v_add_u32_e32 v5, 4, v24
	v_and_b32_e32 v4, 4, v36
	v_min_i32_e32 v25, v34, v5
	v_min_i32_e32 v4, v34, v4
	v_sub_u32_e32 v7, v25, v24
	v_lshlrev_b32_e32 v5, 3, v8
	v_sub_u32_e32 v6, v24, v8
	v_mad_u32_u24 v5, v38, s6, v5
	v_sub_u32_e32 v9, v4, v7
	v_cmp_ge_i32_e64 s[6:7], v4, v7
	v_cndmask_b32_e64 v9, 0, v9, s[6:7]
	v_min_i32_e32 v6, v4, v6
	v_mul_u32_u24_e32 v27, 0x408, v38
	v_cmp_lt_i32_e64 s[6:7], v9, v6
	; wave barrier
	s_and_saveexec_b64 s[8:9], s[6:7]
	s_cbranch_execz .LBB14_56
; %bb.47:
	v_lshlrev_b32_e32 v7, 3, v24
	v_lshlrev_b32_e32 v10, 3, v4
	v_add3_u32 v7, v27, v7, v10
	s_mov_b64 s[10:11], 0
                                        ; implicit-def: $sgpr12_sgpr13
	s_branch .LBB14_50
.LBB14_48:                              ;   in Loop: Header=BB14_50 Depth=1
	s_or_b64 exec, exec, s[18:19]
	s_andn2_b64 s[6:7], s[12:13], exec
	s_and_b64 s[12:13], s[16:17], exec
	s_or_b64 s[12:13], s[6:7], s[12:13]
.LBB14_49:                              ;   in Loop: Header=BB14_50 Depth=1
	s_or_b64 exec, exec, s[14:15]
	v_add_u32_e32 v11, 1, v10
	v_cndmask_b32_e64 v6, v6, v10, s[12:13]
	v_cndmask_b32_e64 v9, v11, v9, s[12:13]
	v_cmp_ge_i32_e64 s[6:7], v9, v6
	s_or_b64 s[10:11], s[6:7], s[10:11]
	s_andn2_b64 exec, exec, s[10:11]
	s_cbranch_execz .LBB14_55
.LBB14_50:                              ; =>This Inner Loop Header: Depth=1
	v_sub_u32_e32 v10, v6, v9
	v_lshrrev_b32_e32 v11, 31, v10
	v_add_u32_e32 v10, v10, v11
	v_ashrrev_i32_e32 v10, 1, v10
	v_add_u32_e32 v10, v10, v9
	v_lshl_add_u32 v11, v10, 3, v5
	v_not_b32_e32 v12, v10
	v_lshl_add_u32 v12, v12, 3, v7
	ds_read_b32 v13, v11
	ds_read_b32 v14, v12
	s_or_b64 s[12:13], s[12:13], exec
	s_waitcnt lgkmcnt(0)
	v_cmp_nlt_f32_e64 s[6:7], v14, v13
	s_and_saveexec_b64 s[14:15], s[6:7]
	s_cbranch_execz .LBB14_49
; %bb.51:                               ;   in Loop: Header=BB14_50 Depth=1
	v_cmp_eq_f32_e64 s[6:7], v14, v13
	s_mov_b64 s[16:17], 0
	s_and_saveexec_b64 s[18:19], s[6:7]
	s_cbranch_execz .LBB14_48
; %bb.52:                               ;   in Loop: Header=BB14_50 Depth=1
	ds_read_b32 v12, v12 offset:4
	ds_read_b32 v11, v11 offset:4
	s_waitcnt lgkmcnt(0)
	v_cmp_lt_f32_e64 s[6:7], v12, v11
	s_and_b64 s[16:17], s[6:7], exec
	s_branch .LBB14_48
.LBB14_53:
	global_load_dword v9, v[20:21], off offset:4
	s_waitcnt vmcnt(0)
	v_pk_mov_b32 v[0:1], v[8:9], v[8:9] op_sel:[0,1]
	v_pk_mov_b32 v[2:3], v[10:11], v[10:11] op_sel:[0,1]
	s_or_b64 exec, exec, s[6:7]
                                        ; implicit-def: $vgpr12
	s_and_saveexec_b64 s[6:7], s[2:3]
	s_cbranch_execz .LBB14_12
.LBB14_54:
	global_load_dword v12, v[20:21], off offset:8
	s_waitcnt vmcnt(0)
	v_mov_b32_e32 v2, v12
	s_or_b64 exec, exec, s[6:7]
                                        ; implicit-def: $vgpr7
	s_and_saveexec_b64 s[6:7], s[4:5]
	s_cbranch_execnz .LBB14_13
	s_branch .LBB14_14
.LBB14_55:
	s_or_b64 exec, exec, s[10:11]
.LBB14_56:
	s_or_b64 exec, exec, s[8:9]
	v_add_u32_e32 v4, v24, v4
	v_sub_u32_e32 v26, v4, v9
	v_lshl_add_u32 v10, v9, 3, v5
	v_lshl_add_u32 v12, v26, 3, v27
	ds_read_b64 v[4:5], v10
	ds_read_b64 v[6:7], v12
	v_cmp_le_i32_e64 s[6:7], v25, v26
                                        ; implicit-def: $sgpr10_sgpr11
	s_and_saveexec_b64 s[8:9], s[6:7]
	s_xor_b64 s[6:7], exec, s[8:9]
; %bb.57:
	s_mov_b64 s[10:11], 0
; %bb.58:
	s_or_saveexec_b64 s[12:13], s[6:7]
	v_add_u32_e32 v28, v9, v8
	s_xor_b64 exec, exec, s[12:13]
	s_cbranch_execz .LBB14_64
; %bb.59:
	v_cmp_gt_i32_e64 s[6:7], v24, v28
	s_waitcnt lgkmcnt(0)
	v_cmp_nlt_f32_e64 s[8:9], v6, v4
	s_and_b64 s[14:15], s[6:7], s[8:9]
	s_mov_b64 s[6:7], -1
	s_and_saveexec_b64 s[8:9], s[14:15]
	s_cbranch_execz .LBB14_63
; %bb.60:
	v_cmp_eq_f32_e64 s[6:7], v6, v4
	s_mov_b64 s[14:15], 0
	s_and_saveexec_b64 s[16:17], s[6:7]
; %bb.61:
	v_cmp_lt_f32_e64 s[6:7], v7, v5
	s_and_b64 s[14:15], s[6:7], exec
; %bb.62:
	s_or_b64 exec, exec, s[16:17]
	s_orn2_b64 s[6:7], s[14:15], exec
.LBB14_63:
	s_or_b64 exec, exec, s[8:9]
	s_andn2_b64 s[8:9], s[10:11], exec
	s_and_b64 s[6:7], s[6:7], exec
	s_or_b64 s[10:11], s[8:9], s[6:7]
.LBB14_64:
	s_or_b64 exec, exec, s[12:13]
	s_xor_b64 s[6:7], s[10:11], -1
                                        ; implicit-def: $vgpr8_vgpr9
	s_and_saveexec_b64 s[8:9], s[6:7]
	s_xor_b64 s[6:7], exec, s[8:9]
	s_cbranch_execz .LBB14_66
; %bb.65:
	ds_read_b64 v[8:9], v10 offset:8
                                        ; implicit-def: $vgpr12
.LBB14_66:
	s_or_saveexec_b64 s[6:7], s[6:7]
	s_waitcnt lgkmcnt(0)
	v_pk_mov_b32 v[10:11], v[6:7], v[6:7] op_sel:[0,1]
	s_xor_b64 exec, exec, s[6:7]
	s_cbranch_execz .LBB14_68
; %bb.67:
	ds_read_b64 v[10:11], v12 offset:8
	v_pk_mov_b32 v[8:9], v[4:5], v[4:5] op_sel:[0,1]
.LBB14_68:
	s_or_b64 exec, exec, s[6:7]
	v_add_u32_e32 v12, 1, v26
	v_add_u32_e32 v13, 1, v28
	v_cndmask_b32_e64 v29, v26, v12, s[10:11]
	v_cndmask_b32_e64 v31, v13, v28, s[10:11]
	v_cmp_lt_i32_e64 s[6:7], v29, v25
	s_mov_b64 s[12:13], 0
	s_and_saveexec_b64 s[14:15], s[6:7]
	s_cbranch_execz .LBB14_74
; %bb.69:
	v_cmp_lt_i32_e64 s[6:7], v31, v24
	s_waitcnt lgkmcnt(0)
	v_cmp_nlt_f32_e64 s[8:9], v10, v8
	s_and_b64 s[12:13], s[6:7], s[8:9]
	s_mov_b64 s[6:7], -1
	s_and_saveexec_b64 s[8:9], s[12:13]
	s_cbranch_execz .LBB14_73
; %bb.70:
	v_cmp_eq_f32_e64 s[6:7], v10, v8
	s_mov_b64 s[12:13], 0
	s_and_saveexec_b64 s[16:17], s[6:7]
; %bb.71:
	v_cmp_lt_f32_e64 s[6:7], v11, v9
	s_and_b64 s[12:13], s[6:7], exec
; %bb.72:
	s_or_b64 exec, exec, s[16:17]
	s_orn2_b64 s[6:7], s[12:13], exec
.LBB14_73:
	s_or_b64 exec, exec, s[8:9]
	s_and_b64 s[12:13], s[6:7], exec
.LBB14_74:
	s_or_b64 exec, exec, s[14:15]
	s_xor_b64 s[6:7], s[12:13], -1
                                        ; implicit-def: $vgpr12_vgpr13
	s_and_saveexec_b64 s[8:9], s[6:7]
	s_xor_b64 s[6:7], exec, s[8:9]
	s_cbranch_execz .LBB14_76
; %bb.75:
	v_lshl_add_u32 v12, v31, 3, v27
	ds_read_b64 v[12:13], v12 offset:8
.LBB14_76:
	s_or_saveexec_b64 s[6:7], s[6:7]
	s_waitcnt lgkmcnt(0)
	v_pk_mov_b32 v[14:15], v[10:11], v[10:11] op_sel:[0,1]
	s_xor_b64 exec, exec, s[6:7]
	s_cbranch_execz .LBB14_78
; %bb.77:
	v_lshl_add_u32 v12, v29, 3, v27
	ds_read_b64 v[14:15], v12 offset:8
	v_pk_mov_b32 v[12:13], v[8:9], v[8:9] op_sel:[0,1]
.LBB14_78:
	s_or_b64 exec, exec, s[6:7]
	v_add_u32_e32 v17, 1, v29
	v_cndmask_b32_e64 v32, v29, v17, s[12:13]
	v_add_u32_e32 v16, 1, v31
	v_cmp_ge_i32_e64 s[6:7], v32, v25
                                        ; implicit-def: $sgpr14_sgpr15
	s_and_saveexec_b64 s[8:9], s[6:7]
	s_xor_b64 s[6:7], exec, s[8:9]
; %bb.79:
	s_mov_b64 s[14:15], 0
; %bb.80:
	s_or_saveexec_b64 s[16:17], s[6:7]
	v_cndmask_b32_e64 v33, v16, v31, s[12:13]
	s_xor_b64 exec, exec, s[16:17]
	s_cbranch_execz .LBB14_86
; %bb.81:
	v_cmp_lt_i32_e64 s[6:7], v33, v24
	s_waitcnt lgkmcnt(0)
	v_cmp_nlt_f32_e64 s[8:9], v14, v12
	s_and_b64 s[18:19], s[6:7], s[8:9]
	s_mov_b64 s[6:7], -1
	s_and_saveexec_b64 s[8:9], s[18:19]
	s_cbranch_execz .LBB14_85
; %bb.82:
	v_cmp_eq_f32_e64 s[6:7], v14, v12
	s_mov_b64 s[18:19], 0
	s_and_saveexec_b64 s[20:21], s[6:7]
; %bb.83:
	v_cmp_lt_f32_e64 s[6:7], v15, v13
	s_and_b64 s[18:19], s[6:7], exec
; %bb.84:
	s_or_b64 exec, exec, s[20:21]
	s_orn2_b64 s[6:7], s[18:19], exec
.LBB14_85:
	s_or_b64 exec, exec, s[8:9]
	s_andn2_b64 s[8:9], s[14:15], exec
	s_and_b64 s[6:7], s[6:7], exec
	s_or_b64 s[14:15], s[8:9], s[6:7]
.LBB14_86:
	s_or_b64 exec, exec, s[16:17]
	s_xor_b64 s[6:7], s[14:15], -1
                                        ; implicit-def: $vgpr16_vgpr17
	s_and_saveexec_b64 s[8:9], s[6:7]
	s_xor_b64 s[6:7], exec, s[8:9]
	s_cbranch_execz .LBB14_88
; %bb.87:
	v_lshl_add_u32 v16, v33, 3, v27
	ds_read_b64 v[16:17], v16 offset:8
.LBB14_88:
	s_or_saveexec_b64 s[6:7], s[6:7]
	s_waitcnt lgkmcnt(0)
	v_pk_mov_b32 v[22:23], v[14:15], v[14:15] op_sel:[0,1]
	s_xor_b64 exec, exec, s[6:7]
	s_cbranch_execz .LBB14_90
; %bb.89:
	v_lshl_add_u32 v16, v32, 3, v27
	ds_read_b64 v[22:23], v16 offset:8
	v_pk_mov_b32 v[16:17], v[12:13], v[12:13] op_sel:[0,1]
.LBB14_90:
	s_or_b64 exec, exec, s[6:7]
	v_add_u32_e32 v38, 1, v32
	v_add_u32_e32 v39, 1, v33
	v_cndmask_b32_e64 v38, v32, v38, s[14:15]
	v_cndmask_b32_e64 v39, v39, v33, s[14:15]
	v_cmp_lt_i32_e64 s[6:7], v38, v25
	s_mov_b64 s[8:9], 0
	s_and_saveexec_b64 s[16:17], s[6:7]
	s_cbranch_execz .LBB14_96
; %bb.91:
	v_cmp_lt_i32_e64 s[6:7], v39, v24
	s_waitcnt lgkmcnt(0)
	v_cmp_nlt_f32_e64 s[8:9], v22, v16
	s_and_b64 s[18:19], s[6:7], s[8:9]
	s_mov_b64 s[6:7], -1
	s_and_saveexec_b64 s[8:9], s[18:19]
	s_cbranch_execz .LBB14_95
; %bb.92:
	v_cmp_eq_f32_e64 s[6:7], v22, v16
	s_mov_b64 s[18:19], 0
	s_and_saveexec_b64 s[20:21], s[6:7]
; %bb.93:
	v_cmp_lt_f32_e64 s[6:7], v23, v17
	s_and_b64 s[18:19], s[6:7], exec
; %bb.94:
	s_or_b64 exec, exec, s[20:21]
	s_orn2_b64 s[6:7], s[18:19], exec
.LBB14_95:
	s_or_b64 exec, exec, s[8:9]
	s_and_b64 s[8:9], s[6:7], exec
.LBB14_96:
	s_or_b64 exec, exec, s[16:17]
	v_cndmask_b32_e64 v12, v12, v14, s[14:15]
	v_cndmask_b32_e64 v13, v13, v15, s[14:15]
	;; [unrolled: 1-line block ×8, first 2 shown]
	s_waitcnt lgkmcnt(0)
	v_cndmask_b32_e64 v6, v16, v22, s[8:9]
	v_cndmask_b32_e64 v15, v39, v38, s[8:9]
	v_sub_u32_e32 v16, v30, v37
	v_cndmask_b32_e64 v5, v5, v7, s[10:11]
	; wave barrier
	ds_write2_b64 v16, v[0:1], v[2:3] offset1:1
	v_lshl_add_u32 v0, v11, 2, v27
	v_lshl_add_u32 v1, v10, 2, v27
	;; [unrolled: 1-line block ×4, first 2 shown]
	v_cndmask_b32_e64 v7, v17, v23, s[8:9]
	; wave barrier
	ds_read_b32 v0, v0
	ds_read_b32 v1, v1
	;; [unrolled: 1-line block ×4, first 2 shown]
	; wave barrier
	ds_write2_b64 v30, v[4:5], v[8:9] offset1:1
	ds_write2_b64 v30, v[12:13], v[6:7] offset0:2 offset1:3
	v_and_b32_e32 v5, 0x70, v36
	v_min_i32_e32 v8, v34, v5
	v_add_u32_e32 v5, 8, v8
	v_min_i32_e32 v24, v34, v5
	v_add_u32_e32 v5, 8, v24
	v_and_b32_e32 v4, 12, v36
	v_min_i32_e32 v25, v34, v5
	v_min_i32_e32 v4, v34, v4
	v_sub_u32_e32 v7, v25, v24
	v_sub_u32_e32 v6, v24, v8
	;; [unrolled: 1-line block ×3, first 2 shown]
	v_cmp_ge_i32_e64 s[6:7], v4, v7
	v_cndmask_b32_e64 v9, 0, v9, s[6:7]
	v_min_i32_e32 v6, v4, v6
	v_lshl_add_u32 v5, v8, 3, v27
	v_cmp_lt_i32_e64 s[6:7], v9, v6
	; wave barrier
	s_and_saveexec_b64 s[8:9], s[6:7]
	s_cbranch_execz .LBB14_104
; %bb.97:
	v_lshlrev_b32_e32 v7, 3, v24
	v_lshlrev_b32_e32 v10, 3, v4
	v_add3_u32 v7, v27, v7, v10
	s_mov_b64 s[10:11], 0
                                        ; implicit-def: $sgpr12_sgpr13
	s_branch .LBB14_100
.LBB14_98:                              ;   in Loop: Header=BB14_100 Depth=1
	s_or_b64 exec, exec, s[18:19]
	s_andn2_b64 s[6:7], s[12:13], exec
	s_and_b64 s[12:13], s[16:17], exec
	s_or_b64 s[12:13], s[6:7], s[12:13]
.LBB14_99:                              ;   in Loop: Header=BB14_100 Depth=1
	s_or_b64 exec, exec, s[14:15]
	v_add_u32_e32 v11, 1, v10
	v_cndmask_b32_e64 v6, v6, v10, s[12:13]
	v_cndmask_b32_e64 v9, v11, v9, s[12:13]
	v_cmp_ge_i32_e64 s[6:7], v9, v6
	s_or_b64 s[10:11], s[6:7], s[10:11]
	s_andn2_b64 exec, exec, s[10:11]
	s_cbranch_execz .LBB14_103
.LBB14_100:                             ; =>This Inner Loop Header: Depth=1
	v_sub_u32_e32 v10, v6, v9
	v_lshrrev_b32_e32 v11, 31, v10
	v_add_u32_e32 v10, v10, v11
	v_ashrrev_i32_e32 v10, 1, v10
	v_add_u32_e32 v10, v10, v9
	v_lshl_add_u32 v11, v10, 3, v5
	v_not_b32_e32 v12, v10
	v_lshl_add_u32 v12, v12, 3, v7
	ds_read_b32 v13, v11
	ds_read_b32 v14, v12
	s_or_b64 s[12:13], s[12:13], exec
	s_waitcnt lgkmcnt(0)
	v_cmp_nlt_f32_e64 s[6:7], v14, v13
	s_and_saveexec_b64 s[14:15], s[6:7]
	s_cbranch_execz .LBB14_99
; %bb.101:                              ;   in Loop: Header=BB14_100 Depth=1
	v_cmp_eq_f32_e64 s[6:7], v14, v13
	s_mov_b64 s[16:17], 0
	s_and_saveexec_b64 s[18:19], s[6:7]
	s_cbranch_execz .LBB14_98
; %bb.102:                              ;   in Loop: Header=BB14_100 Depth=1
	ds_read_b32 v12, v12 offset:4
	ds_read_b32 v11, v11 offset:4
	s_waitcnt lgkmcnt(0)
	v_cmp_lt_f32_e64 s[6:7], v12, v11
	s_and_b64 s[16:17], s[6:7], exec
	s_branch .LBB14_98
.LBB14_103:
	s_or_b64 exec, exec, s[10:11]
.LBB14_104:
	s_or_b64 exec, exec, s[8:9]
	v_add_u32_e32 v4, v24, v4
	v_sub_u32_e32 v28, v4, v9
	v_lshl_add_u32 v10, v9, 3, v5
	v_lshl_add_u32 v12, v28, 3, v27
	ds_read_b64 v[4:5], v10
	ds_read_b64 v[6:7], v12
	v_sub_u32_e32 v26, 0, v37
	v_cmp_le_i32_e64 s[6:7], v25, v28
                                        ; implicit-def: $sgpr10_sgpr11
	s_and_saveexec_b64 s[8:9], s[6:7]
	s_xor_b64 s[6:7], exec, s[8:9]
; %bb.105:
	s_mov_b64 s[10:11], 0
; %bb.106:
	s_or_saveexec_b64 s[12:13], s[6:7]
	v_add_u32_e32 v29, v9, v8
	s_xor_b64 exec, exec, s[12:13]
	s_cbranch_execz .LBB14_112
; %bb.107:
	v_cmp_gt_i32_e64 s[6:7], v24, v29
	s_waitcnt lgkmcnt(0)
	v_cmp_nlt_f32_e64 s[8:9], v6, v4
	s_and_b64 s[14:15], s[6:7], s[8:9]
	s_mov_b64 s[6:7], -1
	s_and_saveexec_b64 s[8:9], s[14:15]
	s_cbranch_execz .LBB14_111
; %bb.108:
	v_cmp_eq_f32_e64 s[6:7], v6, v4
	s_mov_b64 s[14:15], 0
	s_and_saveexec_b64 s[16:17], s[6:7]
; %bb.109:
	v_cmp_lt_f32_e64 s[6:7], v7, v5
	s_and_b64 s[14:15], s[6:7], exec
; %bb.110:
	s_or_b64 exec, exec, s[16:17]
	s_orn2_b64 s[6:7], s[14:15], exec
.LBB14_111:
	s_or_b64 exec, exec, s[8:9]
	s_andn2_b64 s[8:9], s[10:11], exec
	s_and_b64 s[6:7], s[6:7], exec
	s_or_b64 s[10:11], s[8:9], s[6:7]
.LBB14_112:
	s_or_b64 exec, exec, s[12:13]
	s_xor_b64 s[6:7], s[10:11], -1
                                        ; implicit-def: $vgpr8_vgpr9
	s_and_saveexec_b64 s[8:9], s[6:7]
	s_xor_b64 s[6:7], exec, s[8:9]
	s_cbranch_execz .LBB14_114
; %bb.113:
	ds_read_b64 v[8:9], v10 offset:8
                                        ; implicit-def: $vgpr12
.LBB14_114:
	s_or_saveexec_b64 s[6:7], s[6:7]
	s_waitcnt lgkmcnt(0)
	v_pk_mov_b32 v[10:11], v[6:7], v[6:7] op_sel:[0,1]
	s_xor_b64 exec, exec, s[6:7]
	s_cbranch_execz .LBB14_116
; %bb.115:
	ds_read_b64 v[10:11], v12 offset:8
	v_pk_mov_b32 v[8:9], v[4:5], v[4:5] op_sel:[0,1]
.LBB14_116:
	s_or_b64 exec, exec, s[6:7]
	v_add_u32_e32 v12, 1, v28
	v_add_u32_e32 v13, 1, v29
	v_cndmask_b32_e64 v31, v28, v12, s[10:11]
	v_cndmask_b32_e64 v32, v13, v29, s[10:11]
	v_cmp_lt_i32_e64 s[6:7], v31, v25
	s_mov_b64 s[12:13], 0
	s_and_saveexec_b64 s[14:15], s[6:7]
	s_cbranch_execz .LBB14_122
; %bb.117:
	v_cmp_lt_i32_e64 s[6:7], v32, v24
	s_waitcnt lgkmcnt(0)
	v_cmp_nlt_f32_e64 s[8:9], v10, v8
	s_and_b64 s[12:13], s[6:7], s[8:9]
	s_mov_b64 s[6:7], -1
	s_and_saveexec_b64 s[8:9], s[12:13]
	s_cbranch_execz .LBB14_121
; %bb.118:
	v_cmp_eq_f32_e64 s[6:7], v10, v8
	s_mov_b64 s[12:13], 0
	s_and_saveexec_b64 s[16:17], s[6:7]
; %bb.119:
	v_cmp_lt_f32_e64 s[6:7], v11, v9
	s_and_b64 s[12:13], s[6:7], exec
; %bb.120:
	s_or_b64 exec, exec, s[16:17]
	s_orn2_b64 s[6:7], s[12:13], exec
.LBB14_121:
	s_or_b64 exec, exec, s[8:9]
	s_and_b64 s[12:13], s[6:7], exec
.LBB14_122:
	s_or_b64 exec, exec, s[14:15]
	s_xor_b64 s[6:7], s[12:13], -1
                                        ; implicit-def: $vgpr12_vgpr13
	s_and_saveexec_b64 s[8:9], s[6:7]
	s_xor_b64 s[6:7], exec, s[8:9]
	s_cbranch_execz .LBB14_124
; %bb.123:
	v_lshl_add_u32 v12, v32, 3, v27
	ds_read_b64 v[12:13], v12 offset:8
.LBB14_124:
	s_or_saveexec_b64 s[6:7], s[6:7]
	s_waitcnt lgkmcnt(0)
	v_pk_mov_b32 v[14:15], v[10:11], v[10:11] op_sel:[0,1]
	s_xor_b64 exec, exec, s[6:7]
	s_cbranch_execz .LBB14_126
; %bb.125:
	v_lshl_add_u32 v12, v31, 3, v27
	ds_read_b64 v[14:15], v12 offset:8
	v_pk_mov_b32 v[12:13], v[8:9], v[8:9] op_sel:[0,1]
.LBB14_126:
	s_or_b64 exec, exec, s[6:7]
	v_add_u32_e32 v17, 1, v31
	v_cndmask_b32_e64 v33, v31, v17, s[12:13]
	v_add_u32_e32 v16, 1, v32
	v_cmp_ge_i32_e64 s[6:7], v33, v25
                                        ; implicit-def: $sgpr14_sgpr15
	s_and_saveexec_b64 s[8:9], s[6:7]
	s_xor_b64 s[6:7], exec, s[8:9]
; %bb.127:
	s_mov_b64 s[14:15], 0
; %bb.128:
	s_or_saveexec_b64 s[16:17], s[6:7]
	v_cndmask_b32_e64 v37, v16, v32, s[12:13]
	s_xor_b64 exec, exec, s[16:17]
	s_cbranch_execz .LBB14_134
; %bb.129:
	v_cmp_lt_i32_e64 s[6:7], v37, v24
	s_waitcnt lgkmcnt(0)
	v_cmp_nlt_f32_e64 s[8:9], v14, v12
	s_and_b64 s[18:19], s[6:7], s[8:9]
	s_mov_b64 s[6:7], -1
	s_and_saveexec_b64 s[8:9], s[18:19]
	s_cbranch_execz .LBB14_133
; %bb.130:
	v_cmp_eq_f32_e64 s[6:7], v14, v12
	s_mov_b64 s[18:19], 0
	s_and_saveexec_b64 s[20:21], s[6:7]
; %bb.131:
	v_cmp_lt_f32_e64 s[6:7], v15, v13
	s_and_b64 s[18:19], s[6:7], exec
; %bb.132:
	s_or_b64 exec, exec, s[20:21]
	s_orn2_b64 s[6:7], s[18:19], exec
.LBB14_133:
	s_or_b64 exec, exec, s[8:9]
	s_andn2_b64 s[8:9], s[14:15], exec
	s_and_b64 s[6:7], s[6:7], exec
	s_or_b64 s[14:15], s[8:9], s[6:7]
.LBB14_134:
	s_or_b64 exec, exec, s[16:17]
	s_xor_b64 s[6:7], s[14:15], -1
                                        ; implicit-def: $vgpr16_vgpr17
	s_and_saveexec_b64 s[8:9], s[6:7]
	s_xor_b64 s[6:7], exec, s[8:9]
	s_cbranch_execz .LBB14_136
; %bb.135:
	v_lshl_add_u32 v16, v37, 3, v27
	ds_read_b64 v[16:17], v16 offset:8
.LBB14_136:
	s_or_saveexec_b64 s[6:7], s[6:7]
	s_waitcnt lgkmcnt(0)
	v_pk_mov_b32 v[22:23], v[14:15], v[14:15] op_sel:[0,1]
	s_xor_b64 exec, exec, s[6:7]
	s_cbranch_execz .LBB14_138
; %bb.137:
	v_lshl_add_u32 v16, v33, 3, v27
	ds_read_b64 v[22:23], v16 offset:8
	v_pk_mov_b32 v[16:17], v[12:13], v[12:13] op_sel:[0,1]
.LBB14_138:
	s_or_b64 exec, exec, s[6:7]
	v_add_u32_e32 v38, 1, v33
	v_add_u32_e32 v39, 1, v37
	v_cndmask_b32_e64 v38, v33, v38, s[14:15]
	v_cndmask_b32_e64 v39, v39, v37, s[14:15]
	v_cmp_lt_i32_e64 s[6:7], v38, v25
	s_mov_b64 s[8:9], 0
	s_and_saveexec_b64 s[16:17], s[6:7]
	s_cbranch_execz .LBB14_144
; %bb.139:
	v_cmp_lt_i32_e64 s[6:7], v39, v24
	s_waitcnt lgkmcnt(0)
	v_cmp_nlt_f32_e64 s[8:9], v22, v16
	s_and_b64 s[18:19], s[6:7], s[8:9]
	s_mov_b64 s[6:7], -1
	s_and_saveexec_b64 s[8:9], s[18:19]
	s_cbranch_execz .LBB14_143
; %bb.140:
	v_cmp_eq_f32_e64 s[6:7], v22, v16
	s_mov_b64 s[18:19], 0
	s_and_saveexec_b64 s[20:21], s[6:7]
; %bb.141:
	v_cmp_lt_f32_e64 s[6:7], v23, v17
	s_and_b64 s[18:19], s[6:7], exec
; %bb.142:
	s_or_b64 exec, exec, s[20:21]
	s_orn2_b64 s[6:7], s[18:19], exec
.LBB14_143:
	s_or_b64 exec, exec, s[8:9]
	s_and_b64 s[8:9], s[6:7], exec
.LBB14_144:
	s_or_b64 exec, exec, s[16:17]
	v_cndmask_b32_e64 v12, v12, v14, s[14:15]
	v_cndmask_b32_e64 v13, v13, v15, s[14:15]
	v_cndmask_b32_e64 v14, v37, v33, s[14:15]
	v_cndmask_b32_e64 v9, v9, v11, s[12:13]
	v_cndmask_b32_e64 v8, v8, v10, s[12:13]
	v_cndmask_b32_e64 v10, v32, v31, s[12:13]
	v_cndmask_b32_e64 v11, v29, v28, s[10:11]
	v_cndmask_b32_e64 v15, v39, v38, s[8:9]
	v_add_u32_e32 v24, v30, v26
	v_cndmask_b32_e64 v4, v4, v6, s[10:11]
	v_cndmask_b32_e64 v5, v5, v7, s[10:11]
	; wave barrier
	ds_write2_b64 v24, v[0:1], v[2:3] offset1:1
	v_lshl_add_u32 v0, v11, 2, v27
	v_lshl_add_u32 v1, v10, 2, v27
	;; [unrolled: 1-line block ×4, first 2 shown]
	s_waitcnt lgkmcnt(1)
	v_cndmask_b32_e64 v7, v17, v23, s[8:9]
	v_cndmask_b32_e64 v6, v16, v22, s[8:9]
	; wave barrier
	ds_read_b32 v0, v0
	ds_read_b32 v1, v1
	;; [unrolled: 1-line block ×4, first 2 shown]
	; wave barrier
	ds_write2_b64 v30, v[4:5], v[8:9] offset1:1
	ds_write2_b64 v30, v[12:13], v[6:7] offset0:2 offset1:3
	v_and_b32_e32 v5, 0x60, v36
	v_min_i32_e32 v8, v34, v5
	v_add_u32_e32 v5, 16, v8
	v_min_i32_e32 v25, v34, v5
	v_add_u32_e32 v5, 16, v25
	v_and_b32_e32 v4, 28, v36
	v_min_i32_e32 v26, v34, v5
	v_min_i32_e32 v4, v34, v4
	v_sub_u32_e32 v7, v26, v25
	v_sub_u32_e32 v6, v25, v8
	;; [unrolled: 1-line block ×3, first 2 shown]
	v_cmp_ge_i32_e64 s[6:7], v4, v7
	v_cndmask_b32_e64 v9, 0, v9, s[6:7]
	v_min_i32_e32 v6, v4, v6
	v_lshl_add_u32 v5, v8, 3, v27
	v_cmp_lt_i32_e64 s[6:7], v9, v6
	; wave barrier
	s_and_saveexec_b64 s[8:9], s[6:7]
	s_cbranch_execz .LBB14_152
; %bb.145:
	v_lshlrev_b32_e32 v7, 3, v25
	v_lshlrev_b32_e32 v10, 3, v4
	v_add3_u32 v7, v27, v7, v10
	s_mov_b64 s[10:11], 0
                                        ; implicit-def: $sgpr12_sgpr13
	s_branch .LBB14_148
.LBB14_146:                             ;   in Loop: Header=BB14_148 Depth=1
	s_or_b64 exec, exec, s[18:19]
	s_andn2_b64 s[6:7], s[12:13], exec
	s_and_b64 s[12:13], s[16:17], exec
	s_or_b64 s[12:13], s[6:7], s[12:13]
.LBB14_147:                             ;   in Loop: Header=BB14_148 Depth=1
	s_or_b64 exec, exec, s[14:15]
	v_add_u32_e32 v11, 1, v10
	v_cndmask_b32_e64 v6, v6, v10, s[12:13]
	v_cndmask_b32_e64 v9, v11, v9, s[12:13]
	v_cmp_ge_i32_e64 s[6:7], v9, v6
	s_or_b64 s[10:11], s[6:7], s[10:11]
	s_andn2_b64 exec, exec, s[10:11]
	s_cbranch_execz .LBB14_151
.LBB14_148:                             ; =>This Inner Loop Header: Depth=1
	v_sub_u32_e32 v10, v6, v9
	v_lshrrev_b32_e32 v11, 31, v10
	v_add_u32_e32 v10, v10, v11
	v_ashrrev_i32_e32 v10, 1, v10
	v_add_u32_e32 v10, v10, v9
	v_lshl_add_u32 v11, v10, 3, v5
	v_not_b32_e32 v12, v10
	v_lshl_add_u32 v12, v12, 3, v7
	ds_read_b32 v13, v11
	ds_read_b32 v14, v12
	s_or_b64 s[12:13], s[12:13], exec
	s_waitcnt lgkmcnt(0)
	v_cmp_nlt_f32_e64 s[6:7], v14, v13
	s_and_saveexec_b64 s[14:15], s[6:7]
	s_cbranch_execz .LBB14_147
; %bb.149:                              ;   in Loop: Header=BB14_148 Depth=1
	v_cmp_eq_f32_e64 s[6:7], v14, v13
	s_mov_b64 s[16:17], 0
	s_and_saveexec_b64 s[18:19], s[6:7]
	s_cbranch_execz .LBB14_146
; %bb.150:                              ;   in Loop: Header=BB14_148 Depth=1
	ds_read_b32 v12, v12 offset:4
	ds_read_b32 v11, v11 offset:4
	s_waitcnt lgkmcnt(0)
	v_cmp_lt_f32_e64 s[6:7], v12, v11
	s_and_b64 s[16:17], s[6:7], exec
	s_branch .LBB14_146
.LBB14_151:
	s_or_b64 exec, exec, s[10:11]
.LBB14_152:
	s_or_b64 exec, exec, s[8:9]
	v_add_u32_e32 v4, v25, v4
	v_sub_u32_e32 v28, v4, v9
	v_lshl_add_u32 v10, v9, 3, v5
	v_lshl_add_u32 v12, v28, 3, v27
	ds_read_b64 v[4:5], v10
	ds_read_b64 v[6:7], v12
	v_cmp_le_i32_e64 s[6:7], v26, v28
                                        ; implicit-def: $sgpr10_sgpr11
	s_and_saveexec_b64 s[8:9], s[6:7]
	s_xor_b64 s[6:7], exec, s[8:9]
; %bb.153:
	s_mov_b64 s[10:11], 0
; %bb.154:
	s_or_saveexec_b64 s[12:13], s[6:7]
	v_add_u32_e32 v29, v9, v8
	s_xor_b64 exec, exec, s[12:13]
	s_cbranch_execz .LBB14_160
; %bb.155:
	v_cmp_gt_i32_e64 s[6:7], v25, v29
	s_waitcnt lgkmcnt(0)
	v_cmp_nlt_f32_e64 s[8:9], v6, v4
	s_and_b64 s[14:15], s[6:7], s[8:9]
	s_mov_b64 s[6:7], -1
	s_and_saveexec_b64 s[8:9], s[14:15]
	s_cbranch_execz .LBB14_159
; %bb.156:
	v_cmp_eq_f32_e64 s[6:7], v6, v4
	s_mov_b64 s[14:15], 0
	s_and_saveexec_b64 s[16:17], s[6:7]
; %bb.157:
	v_cmp_lt_f32_e64 s[6:7], v7, v5
	s_and_b64 s[14:15], s[6:7], exec
; %bb.158:
	s_or_b64 exec, exec, s[16:17]
	s_orn2_b64 s[6:7], s[14:15], exec
.LBB14_159:
	s_or_b64 exec, exec, s[8:9]
	s_andn2_b64 s[8:9], s[10:11], exec
	s_and_b64 s[6:7], s[6:7], exec
	s_or_b64 s[10:11], s[8:9], s[6:7]
.LBB14_160:
	s_or_b64 exec, exec, s[12:13]
	s_xor_b64 s[6:7], s[10:11], -1
                                        ; implicit-def: $vgpr8_vgpr9
	s_and_saveexec_b64 s[8:9], s[6:7]
	s_xor_b64 s[6:7], exec, s[8:9]
	s_cbranch_execz .LBB14_162
; %bb.161:
	ds_read_b64 v[8:9], v10 offset:8
                                        ; implicit-def: $vgpr12
.LBB14_162:
	s_or_saveexec_b64 s[6:7], s[6:7]
	s_waitcnt lgkmcnt(0)
	v_pk_mov_b32 v[10:11], v[6:7], v[6:7] op_sel:[0,1]
	s_xor_b64 exec, exec, s[6:7]
	s_cbranch_execz .LBB14_164
; %bb.163:
	ds_read_b64 v[10:11], v12 offset:8
	v_pk_mov_b32 v[8:9], v[4:5], v[4:5] op_sel:[0,1]
.LBB14_164:
	s_or_b64 exec, exec, s[6:7]
	v_add_u32_e32 v12, 1, v28
	v_add_u32_e32 v13, 1, v29
	v_cndmask_b32_e64 v31, v28, v12, s[10:11]
	v_cndmask_b32_e64 v32, v13, v29, s[10:11]
	v_cmp_lt_i32_e64 s[6:7], v31, v26
	s_mov_b64 s[12:13], 0
	s_and_saveexec_b64 s[14:15], s[6:7]
	s_cbranch_execz .LBB14_170
; %bb.165:
	v_cmp_lt_i32_e64 s[6:7], v32, v25
	s_waitcnt lgkmcnt(0)
	v_cmp_nlt_f32_e64 s[8:9], v10, v8
	s_and_b64 s[12:13], s[6:7], s[8:9]
	s_mov_b64 s[6:7], -1
	s_and_saveexec_b64 s[8:9], s[12:13]
	s_cbranch_execz .LBB14_169
; %bb.166:
	v_cmp_eq_f32_e64 s[6:7], v10, v8
	s_mov_b64 s[12:13], 0
	s_and_saveexec_b64 s[16:17], s[6:7]
; %bb.167:
	v_cmp_lt_f32_e64 s[6:7], v11, v9
	s_and_b64 s[12:13], s[6:7], exec
; %bb.168:
	s_or_b64 exec, exec, s[16:17]
	s_orn2_b64 s[6:7], s[12:13], exec
.LBB14_169:
	s_or_b64 exec, exec, s[8:9]
	s_and_b64 s[12:13], s[6:7], exec
.LBB14_170:
	s_or_b64 exec, exec, s[14:15]
	s_xor_b64 s[6:7], s[12:13], -1
                                        ; implicit-def: $vgpr12_vgpr13
	s_and_saveexec_b64 s[8:9], s[6:7]
	s_xor_b64 s[6:7], exec, s[8:9]
	s_cbranch_execz .LBB14_172
; %bb.171:
	v_lshl_add_u32 v12, v32, 3, v27
	ds_read_b64 v[12:13], v12 offset:8
.LBB14_172:
	s_or_saveexec_b64 s[6:7], s[6:7]
	s_waitcnt lgkmcnt(0)
	v_pk_mov_b32 v[14:15], v[10:11], v[10:11] op_sel:[0,1]
	s_xor_b64 exec, exec, s[6:7]
	s_cbranch_execz .LBB14_174
; %bb.173:
	v_lshl_add_u32 v12, v31, 3, v27
	ds_read_b64 v[14:15], v12 offset:8
	v_pk_mov_b32 v[12:13], v[8:9], v[8:9] op_sel:[0,1]
.LBB14_174:
	s_or_b64 exec, exec, s[6:7]
	v_add_u32_e32 v17, 1, v31
	v_cndmask_b32_e64 v33, v31, v17, s[12:13]
	v_add_u32_e32 v16, 1, v32
	v_cmp_ge_i32_e64 s[6:7], v33, v26
                                        ; implicit-def: $sgpr14_sgpr15
	s_and_saveexec_b64 s[8:9], s[6:7]
	s_xor_b64 s[6:7], exec, s[8:9]
; %bb.175:
	s_mov_b64 s[14:15], 0
; %bb.176:
	s_or_saveexec_b64 s[16:17], s[6:7]
	v_cndmask_b32_e64 v37, v16, v32, s[12:13]
	s_xor_b64 exec, exec, s[16:17]
	s_cbranch_execz .LBB14_182
; %bb.177:
	v_cmp_lt_i32_e64 s[6:7], v37, v25
	s_waitcnt lgkmcnt(0)
	v_cmp_nlt_f32_e64 s[8:9], v14, v12
	s_and_b64 s[18:19], s[6:7], s[8:9]
	s_mov_b64 s[6:7], -1
	s_and_saveexec_b64 s[8:9], s[18:19]
	s_cbranch_execz .LBB14_181
; %bb.178:
	v_cmp_eq_f32_e64 s[6:7], v14, v12
	s_mov_b64 s[18:19], 0
	s_and_saveexec_b64 s[20:21], s[6:7]
; %bb.179:
	v_cmp_lt_f32_e64 s[6:7], v15, v13
	s_and_b64 s[18:19], s[6:7], exec
; %bb.180:
	s_or_b64 exec, exec, s[20:21]
	s_orn2_b64 s[6:7], s[18:19], exec
.LBB14_181:
	s_or_b64 exec, exec, s[8:9]
	s_andn2_b64 s[8:9], s[14:15], exec
	s_and_b64 s[6:7], s[6:7], exec
	s_or_b64 s[14:15], s[8:9], s[6:7]
.LBB14_182:
	s_or_b64 exec, exec, s[16:17]
	s_xor_b64 s[6:7], s[14:15], -1
                                        ; implicit-def: $vgpr16_vgpr17
	s_and_saveexec_b64 s[8:9], s[6:7]
	s_xor_b64 s[6:7], exec, s[8:9]
	s_cbranch_execz .LBB14_184
; %bb.183:
	v_lshl_add_u32 v16, v37, 3, v27
	ds_read_b64 v[16:17], v16 offset:8
.LBB14_184:
	s_or_saveexec_b64 s[6:7], s[6:7]
	s_waitcnt lgkmcnt(0)
	v_pk_mov_b32 v[22:23], v[14:15], v[14:15] op_sel:[0,1]
	s_xor_b64 exec, exec, s[6:7]
	s_cbranch_execz .LBB14_186
; %bb.185:
	v_lshl_add_u32 v16, v33, 3, v27
	ds_read_b64 v[22:23], v16 offset:8
	v_pk_mov_b32 v[16:17], v[12:13], v[12:13] op_sel:[0,1]
.LBB14_186:
	s_or_b64 exec, exec, s[6:7]
	v_add_u32_e32 v38, 1, v33
	v_add_u32_e32 v39, 1, v37
	v_cndmask_b32_e64 v38, v33, v38, s[14:15]
	v_cndmask_b32_e64 v39, v39, v37, s[14:15]
	v_cmp_lt_i32_e64 s[6:7], v38, v26
	s_mov_b64 s[8:9], 0
	s_and_saveexec_b64 s[16:17], s[6:7]
	s_cbranch_execz .LBB14_192
; %bb.187:
	v_cmp_lt_i32_e64 s[6:7], v39, v25
	s_waitcnt lgkmcnt(0)
	v_cmp_nlt_f32_e64 s[8:9], v22, v16
	s_and_b64 s[18:19], s[6:7], s[8:9]
	s_mov_b64 s[6:7], -1
	s_and_saveexec_b64 s[8:9], s[18:19]
	s_cbranch_execz .LBB14_191
; %bb.188:
	v_cmp_eq_f32_e64 s[6:7], v22, v16
	s_mov_b64 s[18:19], 0
	s_and_saveexec_b64 s[20:21], s[6:7]
; %bb.189:
	v_cmp_lt_f32_e64 s[6:7], v23, v17
	s_and_b64 s[18:19], s[6:7], exec
; %bb.190:
	s_or_b64 exec, exec, s[20:21]
	s_orn2_b64 s[6:7], s[18:19], exec
.LBB14_191:
	s_or_b64 exec, exec, s[8:9]
	s_and_b64 s[8:9], s[6:7], exec
.LBB14_192:
	s_or_b64 exec, exec, s[16:17]
	v_cndmask_b32_e64 v12, v12, v14, s[14:15]
	v_cndmask_b32_e64 v13, v13, v15, s[14:15]
	;; [unrolled: 1-line block ×10, first 2 shown]
	; wave barrier
	ds_write2_b64 v24, v[0:1], v[2:3] offset1:1
	v_lshl_add_u32 v0, v11, 2, v27
	v_lshl_add_u32 v1, v10, 2, v27
	;; [unrolled: 1-line block ×4, first 2 shown]
	s_waitcnt lgkmcnt(1)
	v_cndmask_b32_e64 v7, v17, v23, s[8:9]
	v_cndmask_b32_e64 v6, v16, v22, s[8:9]
	; wave barrier
	ds_read_b32 v0, v0
	ds_read_b32 v1, v1
	;; [unrolled: 1-line block ×4, first 2 shown]
	; wave barrier
	ds_write2_b64 v30, v[4:5], v[8:9] offset1:1
	ds_write2_b64 v30, v[12:13], v[6:7] offset0:2 offset1:3
	v_and_b32_e32 v5, 64, v36
	v_min_i32_e32 v8, v34, v5
	v_add_u32_e32 v5, 32, v8
	v_min_i32_e32 v25, v34, v5
	v_add_u32_e32 v5, 32, v25
	v_and_b32_e32 v4, 60, v36
	v_min_i32_e32 v26, v34, v5
	v_min_i32_e32 v4, v34, v4
	v_sub_u32_e32 v7, v26, v25
	v_sub_u32_e32 v6, v25, v8
	;; [unrolled: 1-line block ×3, first 2 shown]
	v_cmp_ge_i32_e64 s[6:7], v4, v7
	v_cndmask_b32_e64 v9, 0, v9, s[6:7]
	v_min_i32_e32 v6, v4, v6
	v_lshl_add_u32 v5, v8, 3, v27
	v_cmp_lt_i32_e64 s[6:7], v9, v6
	; wave barrier
	s_and_saveexec_b64 s[8:9], s[6:7]
	s_cbranch_execz .LBB14_200
; %bb.193:
	v_lshlrev_b32_e32 v7, 3, v25
	v_lshlrev_b32_e32 v10, 3, v4
	v_add3_u32 v7, v27, v7, v10
	s_mov_b64 s[10:11], 0
                                        ; implicit-def: $sgpr12_sgpr13
	s_branch .LBB14_196
.LBB14_194:                             ;   in Loop: Header=BB14_196 Depth=1
	s_or_b64 exec, exec, s[18:19]
	s_andn2_b64 s[6:7], s[12:13], exec
	s_and_b64 s[12:13], s[16:17], exec
	s_or_b64 s[12:13], s[6:7], s[12:13]
.LBB14_195:                             ;   in Loop: Header=BB14_196 Depth=1
	s_or_b64 exec, exec, s[14:15]
	v_add_u32_e32 v11, 1, v10
	v_cndmask_b32_e64 v6, v6, v10, s[12:13]
	v_cndmask_b32_e64 v9, v11, v9, s[12:13]
	v_cmp_ge_i32_e64 s[6:7], v9, v6
	s_or_b64 s[10:11], s[6:7], s[10:11]
	s_andn2_b64 exec, exec, s[10:11]
	s_cbranch_execz .LBB14_199
.LBB14_196:                             ; =>This Inner Loop Header: Depth=1
	v_sub_u32_e32 v10, v6, v9
	v_lshrrev_b32_e32 v11, 31, v10
	v_add_u32_e32 v10, v10, v11
	v_ashrrev_i32_e32 v10, 1, v10
	v_add_u32_e32 v10, v10, v9
	v_lshl_add_u32 v11, v10, 3, v5
	v_not_b32_e32 v12, v10
	v_lshl_add_u32 v12, v12, 3, v7
	ds_read_b32 v13, v11
	ds_read_b32 v14, v12
	s_or_b64 s[12:13], s[12:13], exec
	s_waitcnt lgkmcnt(0)
	v_cmp_nlt_f32_e64 s[6:7], v14, v13
	s_and_saveexec_b64 s[14:15], s[6:7]
	s_cbranch_execz .LBB14_195
; %bb.197:                              ;   in Loop: Header=BB14_196 Depth=1
	v_cmp_eq_f32_e64 s[6:7], v14, v13
	s_mov_b64 s[16:17], 0
	s_and_saveexec_b64 s[18:19], s[6:7]
	s_cbranch_execz .LBB14_194
; %bb.198:                              ;   in Loop: Header=BB14_196 Depth=1
	ds_read_b32 v12, v12 offset:4
	ds_read_b32 v11, v11 offset:4
	s_waitcnt lgkmcnt(0)
	v_cmp_lt_f32_e64 s[6:7], v12, v11
	s_and_b64 s[16:17], s[6:7], exec
	s_branch .LBB14_194
.LBB14_199:
	s_or_b64 exec, exec, s[10:11]
.LBB14_200:
	s_or_b64 exec, exec, s[8:9]
	v_add_u32_e32 v4, v25, v4
	v_sub_u32_e32 v28, v4, v9
	v_lshl_add_u32 v10, v9, 3, v5
	v_lshl_add_u32 v12, v28, 3, v27
	ds_read_b64 v[4:5], v10
	ds_read_b64 v[6:7], v12
	v_cmp_le_i32_e64 s[6:7], v26, v28
                                        ; implicit-def: $sgpr10_sgpr11
	s_and_saveexec_b64 s[8:9], s[6:7]
	s_xor_b64 s[6:7], exec, s[8:9]
; %bb.201:
	s_mov_b64 s[10:11], 0
; %bb.202:
	s_or_saveexec_b64 s[12:13], s[6:7]
	v_add_u32_e32 v29, v9, v8
	s_xor_b64 exec, exec, s[12:13]
	s_cbranch_execz .LBB14_208
; %bb.203:
	v_cmp_gt_i32_e64 s[6:7], v25, v29
	s_waitcnt lgkmcnt(0)
	v_cmp_nlt_f32_e64 s[8:9], v6, v4
	s_and_b64 s[14:15], s[6:7], s[8:9]
	s_mov_b64 s[6:7], -1
	s_and_saveexec_b64 s[8:9], s[14:15]
	s_cbranch_execz .LBB14_207
; %bb.204:
	v_cmp_eq_f32_e64 s[6:7], v6, v4
	s_mov_b64 s[14:15], 0
	s_and_saveexec_b64 s[16:17], s[6:7]
; %bb.205:
	v_cmp_lt_f32_e64 s[6:7], v7, v5
	s_and_b64 s[14:15], s[6:7], exec
; %bb.206:
	s_or_b64 exec, exec, s[16:17]
	s_orn2_b64 s[6:7], s[14:15], exec
.LBB14_207:
	s_or_b64 exec, exec, s[8:9]
	s_andn2_b64 s[8:9], s[10:11], exec
	s_and_b64 s[6:7], s[6:7], exec
	s_or_b64 s[10:11], s[8:9], s[6:7]
.LBB14_208:
	s_or_b64 exec, exec, s[12:13]
	s_xor_b64 s[6:7], s[10:11], -1
                                        ; implicit-def: $vgpr8_vgpr9
	s_and_saveexec_b64 s[8:9], s[6:7]
	s_xor_b64 s[6:7], exec, s[8:9]
	s_cbranch_execz .LBB14_210
; %bb.209:
	ds_read_b64 v[8:9], v10 offset:8
                                        ; implicit-def: $vgpr12
.LBB14_210:
	s_or_saveexec_b64 s[6:7], s[6:7]
	s_waitcnt lgkmcnt(0)
	v_pk_mov_b32 v[10:11], v[6:7], v[6:7] op_sel:[0,1]
	s_xor_b64 exec, exec, s[6:7]
	s_cbranch_execz .LBB14_212
; %bb.211:
	ds_read_b64 v[10:11], v12 offset:8
	v_pk_mov_b32 v[8:9], v[4:5], v[4:5] op_sel:[0,1]
.LBB14_212:
	s_or_b64 exec, exec, s[6:7]
	v_add_u32_e32 v12, 1, v28
	v_add_u32_e32 v13, 1, v29
	v_cndmask_b32_e64 v31, v28, v12, s[10:11]
	v_cndmask_b32_e64 v32, v13, v29, s[10:11]
	v_cmp_lt_i32_e64 s[6:7], v31, v26
	s_mov_b64 s[12:13], 0
	s_and_saveexec_b64 s[14:15], s[6:7]
	s_cbranch_execz .LBB14_218
; %bb.213:
	v_cmp_lt_i32_e64 s[6:7], v32, v25
	s_waitcnt lgkmcnt(0)
	v_cmp_nlt_f32_e64 s[8:9], v10, v8
	s_and_b64 s[12:13], s[6:7], s[8:9]
	s_mov_b64 s[6:7], -1
	s_and_saveexec_b64 s[8:9], s[12:13]
	s_cbranch_execz .LBB14_217
; %bb.214:
	v_cmp_eq_f32_e64 s[6:7], v10, v8
	s_mov_b64 s[12:13], 0
	s_and_saveexec_b64 s[16:17], s[6:7]
; %bb.215:
	v_cmp_lt_f32_e64 s[6:7], v11, v9
	s_and_b64 s[12:13], s[6:7], exec
; %bb.216:
	s_or_b64 exec, exec, s[16:17]
	s_orn2_b64 s[6:7], s[12:13], exec
.LBB14_217:
	s_or_b64 exec, exec, s[8:9]
	s_and_b64 s[12:13], s[6:7], exec
.LBB14_218:
	s_or_b64 exec, exec, s[14:15]
	s_xor_b64 s[6:7], s[12:13], -1
                                        ; implicit-def: $vgpr12_vgpr13
	s_and_saveexec_b64 s[8:9], s[6:7]
	s_xor_b64 s[6:7], exec, s[8:9]
	s_cbranch_execz .LBB14_220
; %bb.219:
	v_lshl_add_u32 v12, v32, 3, v27
	ds_read_b64 v[12:13], v12 offset:8
.LBB14_220:
	s_or_saveexec_b64 s[6:7], s[6:7]
	s_waitcnt lgkmcnt(0)
	v_pk_mov_b32 v[14:15], v[10:11], v[10:11] op_sel:[0,1]
	s_xor_b64 exec, exec, s[6:7]
	s_cbranch_execz .LBB14_222
; %bb.221:
	v_lshl_add_u32 v12, v31, 3, v27
	ds_read_b64 v[14:15], v12 offset:8
	v_pk_mov_b32 v[12:13], v[8:9], v[8:9] op_sel:[0,1]
.LBB14_222:
	s_or_b64 exec, exec, s[6:7]
	v_add_u32_e32 v17, 1, v31
	v_cndmask_b32_e64 v33, v31, v17, s[12:13]
	v_add_u32_e32 v16, 1, v32
	v_cmp_ge_i32_e64 s[6:7], v33, v26
                                        ; implicit-def: $sgpr14_sgpr15
	s_and_saveexec_b64 s[8:9], s[6:7]
	s_xor_b64 s[6:7], exec, s[8:9]
; %bb.223:
	s_mov_b64 s[14:15], 0
; %bb.224:
	s_or_saveexec_b64 s[16:17], s[6:7]
	v_cndmask_b32_e64 v36, v16, v32, s[12:13]
	s_xor_b64 exec, exec, s[16:17]
	s_cbranch_execz .LBB14_230
; %bb.225:
	v_cmp_lt_i32_e64 s[6:7], v36, v25
	s_waitcnt lgkmcnt(0)
	v_cmp_nlt_f32_e64 s[8:9], v14, v12
	s_and_b64 s[18:19], s[6:7], s[8:9]
	s_mov_b64 s[6:7], -1
	s_and_saveexec_b64 s[8:9], s[18:19]
	s_cbranch_execz .LBB14_229
; %bb.226:
	v_cmp_eq_f32_e64 s[6:7], v14, v12
	s_mov_b64 s[18:19], 0
	s_and_saveexec_b64 s[20:21], s[6:7]
; %bb.227:
	v_cmp_lt_f32_e64 s[6:7], v15, v13
	s_and_b64 s[18:19], s[6:7], exec
; %bb.228:
	s_or_b64 exec, exec, s[20:21]
	s_orn2_b64 s[6:7], s[18:19], exec
.LBB14_229:
	s_or_b64 exec, exec, s[8:9]
	s_andn2_b64 s[8:9], s[14:15], exec
	s_and_b64 s[6:7], s[6:7], exec
	s_or_b64 s[14:15], s[8:9], s[6:7]
.LBB14_230:
	s_or_b64 exec, exec, s[16:17]
	s_xor_b64 s[6:7], s[14:15], -1
                                        ; implicit-def: $vgpr16_vgpr17
	s_and_saveexec_b64 s[8:9], s[6:7]
	s_xor_b64 s[6:7], exec, s[8:9]
	s_cbranch_execz .LBB14_232
; %bb.231:
	v_lshl_add_u32 v16, v36, 3, v27
	ds_read_b64 v[16:17], v16 offset:8
.LBB14_232:
	s_or_saveexec_b64 s[6:7], s[6:7]
	s_waitcnt lgkmcnt(0)
	v_pk_mov_b32 v[22:23], v[14:15], v[14:15] op_sel:[0,1]
	s_xor_b64 exec, exec, s[6:7]
	s_cbranch_execz .LBB14_234
; %bb.233:
	v_lshl_add_u32 v16, v33, 3, v27
	ds_read_b64 v[22:23], v16 offset:8
	v_pk_mov_b32 v[16:17], v[12:13], v[12:13] op_sel:[0,1]
.LBB14_234:
	s_or_b64 exec, exec, s[6:7]
	v_add_u32_e32 v37, 1, v33
	v_add_u32_e32 v38, 1, v36
	v_cndmask_b32_e64 v37, v33, v37, s[14:15]
	v_cndmask_b32_e64 v38, v38, v36, s[14:15]
	v_cmp_lt_i32_e64 s[6:7], v37, v26
	s_mov_b64 s[8:9], 0
	s_and_saveexec_b64 s[16:17], s[6:7]
	s_cbranch_execz .LBB14_240
; %bb.235:
	v_cmp_lt_i32_e64 s[6:7], v38, v25
	s_waitcnt lgkmcnt(0)
	v_cmp_nlt_f32_e64 s[8:9], v22, v16
	s_and_b64 s[18:19], s[6:7], s[8:9]
	s_mov_b64 s[6:7], -1
	s_and_saveexec_b64 s[8:9], s[18:19]
	s_cbranch_execz .LBB14_239
; %bb.236:
	v_cmp_eq_f32_e64 s[6:7], v22, v16
	s_mov_b64 s[18:19], 0
	s_and_saveexec_b64 s[20:21], s[6:7]
; %bb.237:
	v_cmp_lt_f32_e64 s[6:7], v23, v17
	s_and_b64 s[18:19], s[6:7], exec
; %bb.238:
	s_or_b64 exec, exec, s[20:21]
	s_orn2_b64 s[6:7], s[18:19], exec
.LBB14_239:
	s_or_b64 exec, exec, s[8:9]
	s_and_b64 s[8:9], s[6:7], exec
.LBB14_240:
	s_or_b64 exec, exec, s[16:17]
	v_cndmask_b32_e64 v12, v12, v14, s[14:15]
	v_cndmask_b32_e64 v13, v13, v15, s[14:15]
	;; [unrolled: 1-line block ×10, first 2 shown]
	; wave barrier
	ds_write2_b64 v24, v[0:1], v[2:3] offset1:1
	v_lshl_add_u32 v0, v11, 2, v27
	v_lshl_add_u32 v1, v10, 2, v27
	;; [unrolled: 1-line block ×4, first 2 shown]
	s_waitcnt lgkmcnt(1)
	v_cndmask_b32_e64 v7, v17, v23, s[8:9]
	v_cndmask_b32_e64 v6, v16, v22, s[8:9]
	; wave barrier
	ds_read_b32 v0, v0
	ds_read_b32 v1, v1
	ds_read_b32 v2, v2
	ds_read_b32 v3, v3
	; wave barrier
	ds_write2_b64 v30, v[4:5], v[8:9] offset1:1
	ds_write2_b64 v30, v[12:13], v[6:7] offset0:2 offset1:3
	v_min_i32_e32 v8, 0, v34
	v_add_u32_e32 v5, 64, v8
	v_min_i32_e32 v25, v34, v5
	v_add_u32_e32 v5, 64, v25
	v_min_i32_e32 v26, v34, v5
	v_min_i32_e32 v4, v34, v35
	v_sub_u32_e32 v7, v26, v25
	v_sub_u32_e32 v6, v25, v8
	v_sub_u32_e32 v9, v4, v7
	v_cmp_ge_i32_e64 s[6:7], v4, v7
	v_cndmask_b32_e64 v9, 0, v9, s[6:7]
	v_min_i32_e32 v6, v4, v6
	v_lshl_add_u32 v5, v8, 3, v27
	v_cmp_lt_i32_e64 s[6:7], v9, v6
	; wave barrier
	s_and_saveexec_b64 s[8:9], s[6:7]
	s_cbranch_execz .LBB14_248
; %bb.241:
	v_lshlrev_b32_e32 v7, 3, v25
	v_lshlrev_b32_e32 v10, 3, v4
	v_add3_u32 v7, v27, v7, v10
	s_mov_b64 s[10:11], 0
                                        ; implicit-def: $sgpr12_sgpr13
	s_branch .LBB14_244
.LBB14_242:                             ;   in Loop: Header=BB14_244 Depth=1
	s_or_b64 exec, exec, s[18:19]
	s_andn2_b64 s[6:7], s[12:13], exec
	s_and_b64 s[12:13], s[16:17], exec
	s_or_b64 s[12:13], s[6:7], s[12:13]
.LBB14_243:                             ;   in Loop: Header=BB14_244 Depth=1
	s_or_b64 exec, exec, s[14:15]
	v_add_u32_e32 v11, 1, v10
	v_cndmask_b32_e64 v6, v6, v10, s[12:13]
	v_cndmask_b32_e64 v9, v11, v9, s[12:13]
	v_cmp_ge_i32_e64 s[6:7], v9, v6
	s_or_b64 s[10:11], s[6:7], s[10:11]
	s_andn2_b64 exec, exec, s[10:11]
	s_cbranch_execz .LBB14_247
.LBB14_244:                             ; =>This Inner Loop Header: Depth=1
	v_sub_u32_e32 v10, v6, v9
	v_lshrrev_b32_e32 v11, 31, v10
	v_add_u32_e32 v10, v10, v11
	v_ashrrev_i32_e32 v10, 1, v10
	v_add_u32_e32 v10, v10, v9
	v_lshl_add_u32 v11, v10, 3, v5
	v_not_b32_e32 v12, v10
	v_lshl_add_u32 v12, v12, 3, v7
	ds_read_b32 v13, v11
	ds_read_b32 v14, v12
	s_or_b64 s[12:13], s[12:13], exec
	s_waitcnt lgkmcnt(0)
	v_cmp_nlt_f32_e64 s[6:7], v14, v13
	s_and_saveexec_b64 s[14:15], s[6:7]
	s_cbranch_execz .LBB14_243
; %bb.245:                              ;   in Loop: Header=BB14_244 Depth=1
	v_cmp_eq_f32_e64 s[6:7], v14, v13
	s_mov_b64 s[16:17], 0
	s_and_saveexec_b64 s[18:19], s[6:7]
	s_cbranch_execz .LBB14_242
; %bb.246:                              ;   in Loop: Header=BB14_244 Depth=1
	ds_read_b32 v12, v12 offset:4
	ds_read_b32 v11, v11 offset:4
	s_waitcnt lgkmcnt(0)
	v_cmp_lt_f32_e64 s[6:7], v12, v11
	s_and_b64 s[16:17], s[6:7], exec
	s_branch .LBB14_242
.LBB14_247:
	s_or_b64 exec, exec, s[10:11]
.LBB14_248:
	s_or_b64 exec, exec, s[8:9]
	v_add_u32_e32 v4, v4, v25
	v_sub_u32_e32 v28, v4, v9
	v_lshl_add_u32 v10, v9, 3, v5
	v_lshl_add_u32 v12, v28, 3, v27
	ds_read_b64 v[4:5], v10
	ds_read_b64 v[6:7], v12
	v_cmp_le_i32_e64 s[6:7], v26, v28
                                        ; implicit-def: $sgpr10_sgpr11
	s_and_saveexec_b64 s[8:9], s[6:7]
	s_xor_b64 s[6:7], exec, s[8:9]
; %bb.249:
	s_mov_b64 s[10:11], 0
; %bb.250:
	s_or_saveexec_b64 s[12:13], s[6:7]
	v_add_u32_e32 v29, v9, v8
	s_xor_b64 exec, exec, s[12:13]
	s_cbranch_execz .LBB14_256
; %bb.251:
	v_cmp_gt_i32_e64 s[6:7], v25, v29
	s_waitcnt lgkmcnt(0)
	v_cmp_nlt_f32_e64 s[8:9], v6, v4
	s_and_b64 s[14:15], s[6:7], s[8:9]
	s_mov_b64 s[6:7], -1
	s_and_saveexec_b64 s[8:9], s[14:15]
	s_cbranch_execz .LBB14_255
; %bb.252:
	v_cmp_eq_f32_e64 s[6:7], v6, v4
	s_mov_b64 s[14:15], 0
	s_and_saveexec_b64 s[16:17], s[6:7]
; %bb.253:
	v_cmp_lt_f32_e64 s[6:7], v7, v5
	s_and_b64 s[14:15], s[6:7], exec
; %bb.254:
	s_or_b64 exec, exec, s[16:17]
	s_orn2_b64 s[6:7], s[14:15], exec
.LBB14_255:
	s_or_b64 exec, exec, s[8:9]
	s_andn2_b64 s[8:9], s[10:11], exec
	s_and_b64 s[6:7], s[6:7], exec
	s_or_b64 s[10:11], s[8:9], s[6:7]
.LBB14_256:
	s_or_b64 exec, exec, s[12:13]
	s_xor_b64 s[6:7], s[10:11], -1
                                        ; implicit-def: $vgpr8_vgpr9
	s_and_saveexec_b64 s[8:9], s[6:7]
	s_xor_b64 s[6:7], exec, s[8:9]
	s_cbranch_execz .LBB14_258
; %bb.257:
	ds_read_b64 v[8:9], v10 offset:8
                                        ; implicit-def: $vgpr12
.LBB14_258:
	s_or_saveexec_b64 s[6:7], s[6:7]
	s_waitcnt lgkmcnt(0)
	v_pk_mov_b32 v[10:11], v[6:7], v[6:7] op_sel:[0,1]
	s_xor_b64 exec, exec, s[6:7]
	s_cbranch_execz .LBB14_260
; %bb.259:
	ds_read_b64 v[10:11], v12 offset:8
	v_pk_mov_b32 v[8:9], v[4:5], v[4:5] op_sel:[0,1]
.LBB14_260:
	s_or_b64 exec, exec, s[6:7]
	v_add_u32_e32 v13, 1, v28
	v_cndmask_b32_e64 v30, v28, v13, s[10:11]
	v_add_u32_e32 v12, 1, v29
	v_cmp_ge_i32_e64 s[6:7], v30, v26
                                        ; implicit-def: $sgpr12_sgpr13
	s_and_saveexec_b64 s[8:9], s[6:7]
	s_xor_b64 s[6:7], exec, s[8:9]
; %bb.261:
	s_mov_b64 s[12:13], 0
; %bb.262:
	s_or_saveexec_b64 s[14:15], s[6:7]
	v_cndmask_b32_e64 v31, v12, v29, s[10:11]
	s_xor_b64 exec, exec, s[14:15]
	s_cbranch_execz .LBB14_268
; %bb.263:
	v_cmp_lt_i32_e64 s[6:7], v31, v25
	s_waitcnt lgkmcnt(0)
	v_cmp_nlt_f32_e64 s[8:9], v10, v8
	s_and_b64 s[16:17], s[6:7], s[8:9]
	s_mov_b64 s[6:7], -1
	s_and_saveexec_b64 s[8:9], s[16:17]
	s_cbranch_execz .LBB14_267
; %bb.264:
	v_cmp_eq_f32_e64 s[6:7], v10, v8
	s_mov_b64 s[16:17], 0
	s_and_saveexec_b64 s[18:19], s[6:7]
; %bb.265:
	v_cmp_lt_f32_e64 s[6:7], v11, v9
	s_and_b64 s[16:17], s[6:7], exec
; %bb.266:
	s_or_b64 exec, exec, s[18:19]
	s_orn2_b64 s[6:7], s[16:17], exec
.LBB14_267:
	s_or_b64 exec, exec, s[8:9]
	s_andn2_b64 s[8:9], s[12:13], exec
	s_and_b64 s[6:7], s[6:7], exec
	s_or_b64 s[12:13], s[8:9], s[6:7]
.LBB14_268:
	s_or_b64 exec, exec, s[14:15]
	s_xor_b64 s[6:7], s[12:13], -1
                                        ; implicit-def: $vgpr12_vgpr13
	s_and_saveexec_b64 s[8:9], s[6:7]
	s_xor_b64 s[6:7], exec, s[8:9]
	s_cbranch_execz .LBB14_270
; %bb.269:
	v_lshl_add_u32 v12, v31, 3, v27
	ds_read_b64 v[12:13], v12 offset:8
.LBB14_270:
	s_or_saveexec_b64 s[6:7], s[6:7]
	s_waitcnt lgkmcnt(0)
	v_pk_mov_b32 v[14:15], v[10:11], v[10:11] op_sel:[0,1]
	s_xor_b64 exec, exec, s[6:7]
	s_cbranch_execz .LBB14_272
; %bb.271:
	v_lshl_add_u32 v12, v30, 3, v27
	ds_read_b64 v[14:15], v12 offset:8
	v_pk_mov_b32 v[12:13], v[8:9], v[8:9] op_sel:[0,1]
.LBB14_272:
	s_or_b64 exec, exec, s[6:7]
	v_add_u32_e32 v17, 1, v30
	v_cndmask_b32_e64 v32, v30, v17, s[12:13]
	v_add_u32_e32 v16, 1, v31
	v_cmp_ge_i32_e64 s[6:7], v32, v26
                                        ; implicit-def: $sgpr14_sgpr15
	s_and_saveexec_b64 s[8:9], s[6:7]
	s_xor_b64 s[6:7], exec, s[8:9]
; %bb.273:
	s_mov_b64 s[14:15], 0
; %bb.274:
	s_or_saveexec_b64 s[16:17], s[6:7]
	v_cndmask_b32_e64 v33, v16, v31, s[12:13]
	s_xor_b64 exec, exec, s[16:17]
	s_cbranch_execz .LBB14_280
; %bb.275:
	v_cmp_lt_i32_e64 s[6:7], v33, v25
	s_waitcnt lgkmcnt(0)
	v_cmp_nlt_f32_e64 s[8:9], v14, v12
	s_and_b64 s[18:19], s[6:7], s[8:9]
	s_mov_b64 s[6:7], -1
	s_and_saveexec_b64 s[8:9], s[18:19]
	s_cbranch_execz .LBB14_279
; %bb.276:
	v_cmp_eq_f32_e64 s[6:7], v14, v12
	s_mov_b64 s[18:19], 0
	s_and_saveexec_b64 s[20:21], s[6:7]
; %bb.277:
	v_cmp_lt_f32_e64 s[6:7], v15, v13
	s_and_b64 s[18:19], s[6:7], exec
; %bb.278:
	s_or_b64 exec, exec, s[20:21]
	s_orn2_b64 s[6:7], s[18:19], exec
.LBB14_279:
	s_or_b64 exec, exec, s[8:9]
	s_andn2_b64 s[8:9], s[14:15], exec
	s_and_b64 s[6:7], s[6:7], exec
	s_or_b64 s[14:15], s[8:9], s[6:7]
.LBB14_280:
	s_or_b64 exec, exec, s[16:17]
	s_xor_b64 s[6:7], s[14:15], -1
                                        ; implicit-def: $vgpr16_vgpr17
	s_and_saveexec_b64 s[8:9], s[6:7]
	s_xor_b64 s[6:7], exec, s[8:9]
	s_cbranch_execz .LBB14_282
; %bb.281:
	v_lshl_add_u32 v16, v33, 3, v27
	ds_read_b64 v[16:17], v16 offset:8
.LBB14_282:
	s_or_saveexec_b64 s[6:7], s[6:7]
	s_waitcnt lgkmcnt(0)
	v_pk_mov_b32 v[22:23], v[14:15], v[14:15] op_sel:[0,1]
	s_xor_b64 exec, exec, s[6:7]
	s_cbranch_execz .LBB14_284
; %bb.283:
	v_lshl_add_u32 v16, v32, 3, v27
	ds_read_b64 v[22:23], v16 offset:8
	v_pk_mov_b32 v[16:17], v[12:13], v[12:13] op_sel:[0,1]
.LBB14_284:
	s_or_b64 exec, exec, s[6:7]
	v_add_u32_e32 v34, 1, v32
	v_add_u32_e32 v35, 1, v33
	v_cndmask_b32_e64 v34, v32, v34, s[14:15]
	v_cndmask_b32_e64 v35, v35, v33, s[14:15]
	v_cmp_lt_i32_e64 s[6:7], v34, v26
	s_mov_b64 s[8:9], 0
	s_and_saveexec_b64 s[16:17], s[6:7]
	s_cbranch_execz .LBB14_290
; %bb.285:
	v_cmp_lt_i32_e64 s[6:7], v35, v25
	s_waitcnt lgkmcnt(0)
	v_cmp_nlt_f32_e64 s[8:9], v22, v16
	s_and_b64 s[18:19], s[6:7], s[8:9]
	s_mov_b64 s[6:7], -1
	s_and_saveexec_b64 s[8:9], s[18:19]
	s_cbranch_execz .LBB14_289
; %bb.286:
	v_cmp_eq_f32_e64 s[6:7], v22, v16
	s_mov_b64 s[18:19], 0
	s_and_saveexec_b64 s[20:21], s[6:7]
; %bb.287:
	v_cmp_lt_f32_e64 s[6:7], v23, v17
	s_and_b64 s[18:19], s[6:7], exec
; %bb.288:
	s_or_b64 exec, exec, s[20:21]
	s_orn2_b64 s[6:7], s[18:19], exec
.LBB14_289:
	s_or_b64 exec, exec, s[8:9]
	s_and_b64 s[8:9], s[6:7], exec
.LBB14_290:
	s_or_b64 exec, exec, s[16:17]
	v_cndmask_b32_e64 v26, v31, v30, s[12:13]
	v_cndmask_b32_e64 v28, v29, v28, s[10:11]
	;; [unrolled: 1-line block ×4, first 2 shown]
	; wave barrier
	ds_write2_b64 v24, v[0:1], v[2:3] offset1:1
	v_lshl_add_u32 v0, v28, 2, v27
	v_lshl_add_u32 v1, v26, 2, v27
	; wave barrier
	v_lshl_add_u32 v24, v25, 2, v27
	v_lshl_add_u32 v25, v29, 2, v27
	ds_read_b32 v3, v0
	ds_read_b32 v2, v1
	;; [unrolled: 1-line block ×4, first 2 shown]
	s_and_saveexec_b64 s[6:7], vcc
	s_cbranch_execnz .LBB14_299
; %bb.291:
	s_or_b64 exec, exec, s[6:7]
	s_and_saveexec_b64 s[6:7], s[0:1]
	s_cbranch_execnz .LBB14_300
.LBB14_292:
	s_or_b64 exec, exec, s[6:7]
	s_and_saveexec_b64 s[6:7], s[2:3]
	s_cbranch_execnz .LBB14_301
.LBB14_293:
	s_or_b64 exec, exec, s[6:7]
	s_and_saveexec_b64 s[6:7], s[4:5]
	s_cbranch_execnz .LBB14_302
.LBB14_294:
	s_or_b64 exec, exec, s[6:7]
	s_and_saveexec_b64 s[6:7], vcc
	s_cbranch_execnz .LBB14_303
.LBB14_295:
	s_or_b64 exec, exec, s[6:7]
	s_and_saveexec_b64 s[6:7], s[0:1]
	s_cbranch_execnz .LBB14_304
.LBB14_296:
	s_or_b64 exec, exec, s[6:7]
	s_and_saveexec_b64 s[0:1], s[2:3]
	s_cbranch_execnz .LBB14_305
.LBB14_297:
	s_or_b64 exec, exec, s[0:1]
	s_and_saveexec_b64 s[0:1], s[4:5]
	s_cbranch_execnz .LBB14_306
.LBB14_298:
	s_endpgm
.LBB14_299:
	v_cndmask_b32_e64 v4, v4, v6, s[10:11]
	v_cndmask_b32_e64 v5, v5, v7, s[10:11]
	global_store_dwordx2 v[18:19], v[4:5], off
	s_or_b64 exec, exec, s[6:7]
	s_and_saveexec_b64 s[6:7], s[0:1]
	s_cbranch_execz .LBB14_292
.LBB14_300:
	v_cndmask_b32_e64 v4, v8, v10, s[12:13]
	v_cndmask_b32_e64 v5, v9, v11, s[12:13]
	global_store_dwordx2 v[18:19], v[4:5], off offset:8
	s_or_b64 exec, exec, s[6:7]
	s_and_saveexec_b64 s[6:7], s[2:3]
	s_cbranch_execz .LBB14_293
.LBB14_301:
	v_cndmask_b32_e64 v4, v12, v14, s[14:15]
	v_cndmask_b32_e64 v5, v13, v15, s[14:15]
	global_store_dwordx2 v[18:19], v[4:5], off offset:16
	s_or_b64 exec, exec, s[6:7]
	s_and_saveexec_b64 s[6:7], s[4:5]
	s_cbranch_execz .LBB14_294
.LBB14_302:
	s_waitcnt lgkmcnt(5)
	v_cndmask_b32_e64 v5, v17, v23, s[8:9]
	v_cndmask_b32_e64 v4, v16, v22, s[8:9]
	global_store_dwordx2 v[18:19], v[4:5], off offset:24
	s_or_b64 exec, exec, s[6:7]
	s_and_saveexec_b64 s[6:7], vcc
	s_cbranch_execz .LBB14_295
.LBB14_303:
	s_waitcnt lgkmcnt(3)
	global_store_dword v[20:21], v3, off
	s_or_b64 exec, exec, s[6:7]
	s_and_saveexec_b64 s[6:7], s[0:1]
	s_cbranch_execz .LBB14_296
.LBB14_304:
	s_waitcnt lgkmcnt(2)
	global_store_dword v[20:21], v2, off offset:4
	s_or_b64 exec, exec, s[6:7]
	s_and_saveexec_b64 s[0:1], s[2:3]
	s_cbranch_execz .LBB14_297
.LBB14_305:
	s_waitcnt lgkmcnt(1)
	global_store_dword v[20:21], v1, off offset:8
	s_or_b64 exec, exec, s[0:1]
	s_and_saveexec_b64 s[0:1], s[4:5]
	s_cbranch_execz .LBB14_298
.LBB14_306:
	s_waitcnt lgkmcnt(0)
	global_store_dword v[20:21], v0, off offset:12
	s_endpgm
	.section	.rodata,"a",@progbits
	.p2align	6, 0x0
	.amdhsa_kernel _Z26sort_keys_values_segmentedILj256ELj32ELj4ELb0EN10test_utils16custom_test_typeIfEEiNS0_4lessEEvPT3_PT4_PKjT5_
		.amdhsa_group_segment_fixed_size 8256
		.amdhsa_private_segment_fixed_size 0
		.amdhsa_kernarg_size 28
		.amdhsa_user_sgpr_count 6
		.amdhsa_user_sgpr_private_segment_buffer 1
		.amdhsa_user_sgpr_dispatch_ptr 0
		.amdhsa_user_sgpr_queue_ptr 0
		.amdhsa_user_sgpr_kernarg_segment_ptr 1
		.amdhsa_user_sgpr_dispatch_id 0
		.amdhsa_user_sgpr_flat_scratch_init 0
		.amdhsa_user_sgpr_kernarg_preload_length 0
		.amdhsa_user_sgpr_kernarg_preload_offset 0
		.amdhsa_user_sgpr_private_segment_size 0
		.amdhsa_uses_dynamic_stack 0
		.amdhsa_system_sgpr_private_segment_wavefront_offset 0
		.amdhsa_system_sgpr_workgroup_id_x 1
		.amdhsa_system_sgpr_workgroup_id_y 0
		.amdhsa_system_sgpr_workgroup_id_z 0
		.amdhsa_system_sgpr_workgroup_info 0
		.amdhsa_system_vgpr_workitem_id 0
		.amdhsa_next_free_vgpr 41
		.amdhsa_next_free_sgpr 22
		.amdhsa_accum_offset 44
		.amdhsa_reserve_vcc 1
		.amdhsa_reserve_flat_scratch 0
		.amdhsa_float_round_mode_32 0
		.amdhsa_float_round_mode_16_64 0
		.amdhsa_float_denorm_mode_32 3
		.amdhsa_float_denorm_mode_16_64 3
		.amdhsa_dx10_clamp 1
		.amdhsa_ieee_mode 1
		.amdhsa_fp16_overflow 0
		.amdhsa_tg_split 0
		.amdhsa_exception_fp_ieee_invalid_op 0
		.amdhsa_exception_fp_denorm_src 0
		.amdhsa_exception_fp_ieee_div_zero 0
		.amdhsa_exception_fp_ieee_overflow 0
		.amdhsa_exception_fp_ieee_underflow 0
		.amdhsa_exception_fp_ieee_inexact 0
		.amdhsa_exception_int_div_zero 0
	.end_amdhsa_kernel
	.section	.text._Z26sort_keys_values_segmentedILj256ELj32ELj4ELb0EN10test_utils16custom_test_typeIfEEiNS0_4lessEEvPT3_PT4_PKjT5_,"axG",@progbits,_Z26sort_keys_values_segmentedILj256ELj32ELj4ELb0EN10test_utils16custom_test_typeIfEEiNS0_4lessEEvPT3_PT4_PKjT5_,comdat
.Lfunc_end14:
	.size	_Z26sort_keys_values_segmentedILj256ELj32ELj4ELb0EN10test_utils16custom_test_typeIfEEiNS0_4lessEEvPT3_PT4_PKjT5_, .Lfunc_end14-_Z26sort_keys_values_segmentedILj256ELj32ELj4ELb0EN10test_utils16custom_test_typeIfEEiNS0_4lessEEvPT3_PT4_PKjT5_
                                        ; -- End function
	.section	.AMDGPU.csdata,"",@progbits
; Kernel info:
; codeLenInByte = 8444
; NumSgprs: 26
; NumVgprs: 41
; NumAgprs: 0
; TotalNumVgprs: 41
; ScratchSize: 0
; MemoryBound: 0
; FloatMode: 240
; IeeeMode: 1
; LDSByteSize: 8256 bytes/workgroup (compile time only)
; SGPRBlocks: 3
; VGPRBlocks: 5
; NumSGPRsForWavesPerEU: 26
; NumVGPRsForWavesPerEU: 41
; AccumOffset: 44
; Occupancy: 7
; WaveLimiterHint : 0
; COMPUTE_PGM_RSRC2:SCRATCH_EN: 0
; COMPUTE_PGM_RSRC2:USER_SGPR: 6
; COMPUTE_PGM_RSRC2:TRAP_HANDLER: 0
; COMPUTE_PGM_RSRC2:TGID_X_EN: 1
; COMPUTE_PGM_RSRC2:TGID_Y_EN: 0
; COMPUTE_PGM_RSRC2:TGID_Z_EN: 0
; COMPUTE_PGM_RSRC2:TIDIG_COMP_CNT: 0
; COMPUTE_PGM_RSRC3_GFX90A:ACCUM_OFFSET: 10
; COMPUTE_PGM_RSRC3_GFX90A:TG_SPLIT: 0
	.section	.text._Z26sort_keys_values_segmentedILj256ELj32ELj2ELb0EN10test_utils16custom_test_typeIfEEyNS0_4lessEEvPT3_PT4_PKjT5_,"axG",@progbits,_Z26sort_keys_values_segmentedILj256ELj32ELj2ELb0EN10test_utils16custom_test_typeIfEEyNS0_4lessEEvPT3_PT4_PKjT5_,comdat
	.protected	_Z26sort_keys_values_segmentedILj256ELj32ELj2ELb0EN10test_utils16custom_test_typeIfEEyNS0_4lessEEvPT3_PT4_PKjT5_ ; -- Begin function _Z26sort_keys_values_segmentedILj256ELj32ELj2ELb0EN10test_utils16custom_test_typeIfEEyNS0_4lessEEvPT3_PT4_PKjT5_
	.globl	_Z26sort_keys_values_segmentedILj256ELj32ELj2ELb0EN10test_utils16custom_test_typeIfEEyNS0_4lessEEvPT3_PT4_PKjT5_
	.p2align	8
	.type	_Z26sort_keys_values_segmentedILj256ELj32ELj2ELb0EN10test_utils16custom_test_typeIfEEyNS0_4lessEEvPT3_PT4_PKjT5_,@function
_Z26sort_keys_values_segmentedILj256ELj32ELj2ELb0EN10test_utils16custom_test_typeIfEEyNS0_4lessEEvPT3_PT4_PKjT5_: ; @_Z26sort_keys_values_segmentedILj256ELj32ELj2ELb0EN10test_utils16custom_test_typeIfEEyNS0_4lessEEvPT3_PT4_PKjT5_
; %bb.0:
	s_load_dwordx2 s[0:1], s[4:5], 0x10
	v_lshrrev_b32_e32 v23, 5, v0
	v_lshl_or_b32 v12, s6, 3, v23
	v_mov_b32_e32 v13, 0
	v_lshlrev_b64 v[0:1], 2, v[12:13]
	s_waitcnt lgkmcnt(0)
	v_mov_b32_e32 v2, s1
	v_add_co_u32_e32 v0, vcc, s0, v0
	v_addc_co_u32_e32 v1, vcc, v2, v1, vcc
	global_load_dword v18, v[0:1], off
	s_load_dwordx4 s[0:3], s[4:5], 0x0
	v_mbcnt_lo_u32_b32 v0, -1, 0
	v_mbcnt_hi_u32_b32 v0, -1, v0
	v_lshlrev_b32_e32 v12, 6, v12
	v_lshlrev_b32_e32 v20, 1, v0
	v_lshlrev_b64 v[0:1], 3, v[12:13]
	v_and_b32_e32 v19, 62, v20
	s_waitcnt lgkmcnt(0)
	v_mov_b32_e32 v2, s1
	v_add_co_u32_e32 v3, vcc, s0, v0
	v_lshlrev_b32_e32 v17, 3, v19
	v_addc_co_u32_e32 v2, vcc, v2, v1, vcc
	v_add_co_u32_e32 v4, vcc, v3, v17
	v_addc_co_u32_e32 v5, vcc, 0, v2, vcc
	v_mov_b32_e32 v10, 0
	v_mov_b32_e32 v11, 0
	s_waitcnt vmcnt(0)
	v_cmp_lt_u32_e32 vcc, v19, v18
	s_and_saveexec_b64 s[0:1], vcc
	s_cbranch_execz .LBB15_2
; %bb.1:
	global_load_dwordx2 v[10:11], v[4:5], off
.LBB15_2:
	s_or_b64 exec, exec, s[0:1]
	v_or_b32_e32 v12, 1, v19
	v_cmp_lt_u32_e64 s[0:1], v12, v18
	v_mov_b32_e32 v15, 0
	s_and_saveexec_b64 s[4:5], s[0:1]
	s_cbranch_execz .LBB15_4
; %bb.3:
	global_load_dwordx2 v[14:15], v[4:5], off offset:8
	s_waitcnt vmcnt(0)
	v_mov_b32_e32 v13, v14
.LBB15_4:
	s_or_b64 exec, exec, s[4:5]
	v_mov_b32_e32 v2, s3
	v_add_co_u32_e64 v0, s[2:3], s2, v0
	v_addc_co_u32_e64 v1, s[2:3], v2, v1, s[2:3]
	v_add_co_u32_e64 v6, s[2:3], v0, v17
	v_addc_co_u32_e64 v7, s[2:3], 0, v1, s[2:3]
                                        ; implicit-def: $vgpr8_vgpr9
	s_and_saveexec_b64 s[2:3], vcc
	s_cbranch_execz .LBB15_6
; %bb.5:
	global_load_dwordx2 v[8:9], v[6:7], off
.LBB15_6:
	s_or_b64 exec, exec, s[2:3]
	s_and_saveexec_b64 s[2:3], s[0:1]
                                        ; implicit-def: $vgpr0_vgpr1_vgpr2_vgpr3
	s_cbranch_execz .LBB15_8
; %bb.7:
	global_load_dwordx2 v[2:3], v[6:7], off offset:8
.LBB15_8:
	s_or_b64 exec, exec, s[2:3]
	s_getpc_b64 s[2:3]
	s_add_u32 s2, s2, _ZN9sort_lastIN10test_utils4lessENS0_16custom_test_typeIfEEE5valueE@rel32@lo+4
	s_addc_u32 s3, s3, _ZN9sort_lastIN10test_utils4lessENS0_16custom_test_typeIfEEE5valueE@rel32@hi+12
	s_load_dwordx2 s[2:3], s[2:3], 0x0
	s_waitcnt lgkmcnt(0)
	v_mov_b32_e32 v0, s3
	v_mov_b32_e32 v14, s2
	v_cmp_lt_i32_e64 s[2:3], v12, v18
	v_cndmask_b32_e64 v1, v0, v15, s[2:3]
	v_cndmask_b32_e64 v0, v14, v13, s[2:3]
	v_cmp_lt_i32_e64 s[2:3], v19, v18
	s_and_saveexec_b64 s[8:9], s[2:3]
	s_cbranch_execz .LBB15_12
; %bb.9:
	s_waitcnt vmcnt(0)
	v_cmp_eq_f32_e64 s[4:5], v0, v10
	v_cmp_lt_f32_e64 s[6:7], v1, v11
	v_cmp_lt_f32_e64 s[2:3], v0, v10
	s_and_b64 s[4:5], s[4:5], s[6:7]
	s_or_b64 s[4:5], s[2:3], s[4:5]
	v_mov_b32_e32 v14, v0
	v_mov_b32_e32 v15, v11
	v_pk_mov_b32 v[12:13], v[2:3], v[2:3] op_sel:[0,1]
	s_and_saveexec_b64 s[2:3], s[4:5]
; %bb.10:
	v_mov_b32_e32 v14, v10
	v_mov_b32_e32 v15, v1
	v_pk_mov_b32 v[12:13], v[8:9], v[8:9] op_sel:[0,1]
	v_pk_mov_b32 v[8:9], v[2:3], v[2:3] op_sel:[0,1]
	v_mov_b32_e32 v10, v0
	v_mov_b32_e32 v1, v11
; %bb.11:
	s_or_b64 exec, exec, s[2:3]
	v_pk_mov_b32 v[2:3], v[12:13], v[12:13] op_sel:[0,1]
	v_mov_b32_e32 v11, v15
	v_mov_b32_e32 v0, v14
.LBB15_12:
	s_or_b64 exec, exec, s[8:9]
	s_movk_i32 s2, 0x208
	v_mad_u32_u24 v17, v23, s2, v17
	; wave barrier
	s_waitcnt vmcnt(0)
	ds_write2_b64 v17, v[10:11], v[0:1] offset1:1
	v_and_b32_e32 v1, 60, v20
	v_min_i32_e32 v12, v18, v1
	v_add_u32_e32 v1, 2, v12
	v_min_i32_e32 v21, v18, v1
	v_add_u32_e32 v1, 2, v21
	v_and_b32_e32 v0, 2, v20
	v_min_i32_e32 v22, v18, v1
	v_min_i32_e32 v0, v18, v0
	v_sub_u32_e32 v11, v22, v21
	v_lshlrev_b32_e32 v1, 3, v12
	v_sub_u32_e32 v10, v21, v12
	v_mad_u32_u24 v1, v23, s2, v1
	v_sub_u32_e32 v13, v0, v11
	v_cmp_ge_i32_e64 s[2:3], v0, v11
	v_cndmask_b32_e64 v13, 0, v13, s[2:3]
	v_min_i32_e32 v10, v0, v10
	v_mul_u32_u24_e32 v16, 0x208, v23
	v_cmp_lt_i32_e64 s[2:3], v13, v10
	; wave barrier
	s_and_saveexec_b64 s[4:5], s[2:3]
	s_cbranch_execz .LBB15_20
; %bb.13:
	v_lshlrev_b32_e32 v11, 3, v21
	v_lshlrev_b32_e32 v14, 3, v0
	v_add3_u32 v11, v16, v11, v14
	s_mov_b64 s[6:7], 0
                                        ; implicit-def: $sgpr8_sgpr9
	s_branch .LBB15_16
.LBB15_14:                              ;   in Loop: Header=BB15_16 Depth=1
	s_or_b64 exec, exec, s[14:15]
	s_andn2_b64 s[2:3], s[8:9], exec
	s_and_b64 s[8:9], s[12:13], exec
	s_or_b64 s[8:9], s[2:3], s[8:9]
.LBB15_15:                              ;   in Loop: Header=BB15_16 Depth=1
	s_or_b64 exec, exec, s[10:11]
	v_add_u32_e32 v15, 1, v14
	v_cndmask_b32_e64 v10, v10, v14, s[8:9]
	v_cndmask_b32_e64 v13, v15, v13, s[8:9]
	v_cmp_ge_i32_e64 s[2:3], v13, v10
	s_or_b64 s[6:7], s[2:3], s[6:7]
	s_andn2_b64 exec, exec, s[6:7]
	s_cbranch_execz .LBB15_19
.LBB15_16:                              ; =>This Inner Loop Header: Depth=1
	v_sub_u32_e32 v14, v10, v13
	v_lshrrev_b32_e32 v15, 31, v14
	v_add_u32_e32 v14, v14, v15
	v_ashrrev_i32_e32 v14, 1, v14
	v_add_u32_e32 v14, v14, v13
	v_lshl_add_u32 v15, v14, 3, v1
	v_not_b32_e32 v23, v14
	v_lshl_add_u32 v23, v23, 3, v11
	ds_read_b32 v24, v15
	ds_read_b32 v25, v23
	s_or_b64 s[8:9], s[8:9], exec
	s_waitcnt lgkmcnt(0)
	v_cmp_nlt_f32_e64 s[2:3], v25, v24
	s_and_saveexec_b64 s[10:11], s[2:3]
	s_cbranch_execz .LBB15_15
; %bb.17:                               ;   in Loop: Header=BB15_16 Depth=1
	v_cmp_eq_f32_e64 s[2:3], v25, v24
	s_mov_b64 s[12:13], 0
	s_and_saveexec_b64 s[14:15], s[2:3]
	s_cbranch_execz .LBB15_14
; %bb.18:                               ;   in Loop: Header=BB15_16 Depth=1
	ds_read_b32 v23, v23 offset:4
	ds_read_b32 v15, v15 offset:4
	s_waitcnt lgkmcnt(0)
	v_cmp_lt_f32_e64 s[2:3], v23, v15
	s_and_b64 s[12:13], s[2:3], exec
	s_branch .LBB15_14
.LBB15_19:
	s_or_b64 exec, exec, s[6:7]
.LBB15_20:
	s_or_b64 exec, exec, s[4:5]
	v_add_u32_e32 v0, v21, v0
	v_sub_u32_e32 v23, v0, v13
	v_lshl_add_u32 v14, v13, 3, v1
	v_lshl_add_u32 v25, v23, 3, v16
	ds_read_b64 v[0:1], v14
	ds_read_b64 v[10:11], v25
	v_cmp_le_i32_e64 s[2:3], v22, v23
                                        ; implicit-def: $sgpr6_sgpr7
	s_and_saveexec_b64 s[4:5], s[2:3]
	s_xor_b64 s[2:3], exec, s[4:5]
; %bb.21:
	s_mov_b64 s[6:7], 0
; %bb.22:
	s_or_saveexec_b64 s[8:9], s[2:3]
	v_add_u32_e32 v24, v13, v12
	s_xor_b64 exec, exec, s[8:9]
	s_cbranch_execz .LBB15_28
; %bb.23:
	v_cmp_gt_i32_e64 s[2:3], v21, v24
	s_waitcnt lgkmcnt(0)
	v_cmp_nlt_f32_e64 s[4:5], v10, v0
	s_and_b64 s[10:11], s[2:3], s[4:5]
	s_mov_b64 s[2:3], -1
	s_and_saveexec_b64 s[4:5], s[10:11]
	s_cbranch_execz .LBB15_27
; %bb.24:
	v_cmp_eq_f32_e64 s[2:3], v10, v0
	s_mov_b64 s[10:11], 0
	s_and_saveexec_b64 s[12:13], s[2:3]
; %bb.25:
	v_cmp_lt_f32_e64 s[2:3], v11, v1
	s_and_b64 s[10:11], s[2:3], exec
; %bb.26:
	s_or_b64 exec, exec, s[12:13]
	s_orn2_b64 s[2:3], s[10:11], exec
.LBB15_27:
	s_or_b64 exec, exec, s[4:5]
	s_andn2_b64 s[4:5], s[6:7], exec
	s_and_b64 s[2:3], s[2:3], exec
	s_or_b64 s[6:7], s[4:5], s[2:3]
.LBB15_28:
	s_or_b64 exec, exec, s[8:9]
	s_xor_b64 s[2:3], s[6:7], -1
                                        ; implicit-def: $vgpr12_vgpr13
	s_and_saveexec_b64 s[4:5], s[2:3]
	s_xor_b64 s[2:3], exec, s[4:5]
	s_cbranch_execz .LBB15_30
; %bb.29:
	ds_read_b64 v[12:13], v14 offset:8
                                        ; implicit-def: $vgpr25
.LBB15_30:
	s_or_saveexec_b64 s[2:3], s[2:3]
	s_waitcnt lgkmcnt(0)
	v_pk_mov_b32 v[14:15], v[10:11], v[10:11] op_sel:[0,1]
	s_xor_b64 exec, exec, s[2:3]
	s_cbranch_execz .LBB15_32
; %bb.31:
	ds_read_b64 v[14:15], v25 offset:8
	v_pk_mov_b32 v[12:13], v[0:1], v[0:1] op_sel:[0,1]
.LBB15_32:
	s_or_b64 exec, exec, s[2:3]
	v_add_u32_e32 v25, 1, v23
	v_add_u32_e32 v26, 1, v24
	v_cndmask_b32_e64 v25, v23, v25, s[6:7]
	v_cndmask_b32_e64 v26, v26, v24, s[6:7]
	v_cmp_lt_i32_e64 s[2:3], v25, v22
	s_mov_b64 s[4:5], 0
	s_and_saveexec_b64 s[8:9], s[2:3]
	s_cbranch_execz .LBB15_38
; %bb.33:
	v_cmp_lt_i32_e64 s[2:3], v26, v21
	s_waitcnt lgkmcnt(0)
	v_cmp_nlt_f32_e64 s[4:5], v14, v12
	s_and_b64 s[10:11], s[2:3], s[4:5]
	s_mov_b64 s[2:3], -1
	s_and_saveexec_b64 s[4:5], s[10:11]
	s_cbranch_execz .LBB15_37
; %bb.34:
	v_cmp_eq_f32_e64 s[2:3], v14, v12
	s_mov_b64 s[10:11], 0
	s_and_saveexec_b64 s[12:13], s[2:3]
; %bb.35:
	v_cmp_lt_f32_e64 s[2:3], v15, v13
	s_and_b64 s[10:11], s[2:3], exec
; %bb.36:
	s_or_b64 exec, exec, s[12:13]
	s_orn2_b64 s[2:3], s[10:11], exec
.LBB15_37:
	s_or_b64 exec, exec, s[4:5]
	s_and_b64 s[4:5], s[2:3], exec
.LBB15_38:
	s_or_b64 exec, exec, s[8:9]
	v_cndmask_b32_e64 v10, v0, v10, s[6:7]
	v_cndmask_b32_e64 v11, v1, v11, s[6:7]
	;; [unrolled: 1-line block ×4, first 2 shown]
	s_waitcnt lgkmcnt(0)
	v_cndmask_b32_e64 v13, v13, v15, s[4:5]
	v_cndmask_b32_e64 v12, v12, v14, s[4:5]
	; wave barrier
	ds_write2_b64 v17, v[8:9], v[2:3] offset1:1
	v_lshl_add_u32 v0, v0, 3, v16
	v_lshl_add_u32 v2, v1, 3, v16
	v_and_b32_e32 v9, 56, v20
	; wave barrier
	ds_read_b64 v[0:1], v0
	ds_read_b64 v[2:3], v2
	; wave barrier
	ds_write2_b64 v17, v[10:11], v[12:13] offset1:1
	v_min_i32_e32 v12, v18, v9
	v_add_u32_e32 v9, 4, v12
	v_min_i32_e32 v21, v18, v9
	v_add_u32_e32 v9, 4, v21
	v_and_b32_e32 v8, 6, v20
	v_min_i32_e32 v22, v18, v9
	v_min_i32_e32 v8, v18, v8
	v_sub_u32_e32 v11, v22, v21
	v_sub_u32_e32 v10, v21, v12
	;; [unrolled: 1-line block ×3, first 2 shown]
	v_cmp_ge_i32_e64 s[2:3], v8, v11
	v_cndmask_b32_e64 v13, 0, v13, s[2:3]
	v_min_i32_e32 v10, v8, v10
	v_lshl_add_u32 v9, v12, 3, v16
	v_cmp_lt_i32_e64 s[2:3], v13, v10
	; wave barrier
	s_and_saveexec_b64 s[4:5], s[2:3]
	s_cbranch_execz .LBB15_46
; %bb.39:
	v_lshlrev_b32_e32 v11, 3, v21
	v_lshlrev_b32_e32 v14, 3, v8
	v_add3_u32 v11, v16, v11, v14
	s_mov_b64 s[6:7], 0
                                        ; implicit-def: $sgpr8_sgpr9
	s_branch .LBB15_42
.LBB15_40:                              ;   in Loop: Header=BB15_42 Depth=1
	s_or_b64 exec, exec, s[14:15]
	s_andn2_b64 s[2:3], s[8:9], exec
	s_and_b64 s[8:9], s[12:13], exec
	s_or_b64 s[8:9], s[2:3], s[8:9]
.LBB15_41:                              ;   in Loop: Header=BB15_42 Depth=1
	s_or_b64 exec, exec, s[10:11]
	v_add_u32_e32 v15, 1, v14
	v_cndmask_b32_e64 v10, v10, v14, s[8:9]
	v_cndmask_b32_e64 v13, v15, v13, s[8:9]
	v_cmp_ge_i32_e64 s[2:3], v13, v10
	s_or_b64 s[6:7], s[2:3], s[6:7]
	s_andn2_b64 exec, exec, s[6:7]
	s_cbranch_execz .LBB15_45
.LBB15_42:                              ; =>This Inner Loop Header: Depth=1
	v_sub_u32_e32 v14, v10, v13
	v_lshrrev_b32_e32 v15, 31, v14
	v_add_u32_e32 v14, v14, v15
	v_ashrrev_i32_e32 v14, 1, v14
	v_add_u32_e32 v14, v14, v13
	v_lshl_add_u32 v15, v14, 3, v9
	v_not_b32_e32 v23, v14
	v_lshl_add_u32 v23, v23, 3, v11
	ds_read_b32 v24, v15
	ds_read_b32 v25, v23
	s_or_b64 s[8:9], s[8:9], exec
	s_waitcnt lgkmcnt(0)
	v_cmp_nlt_f32_e64 s[2:3], v25, v24
	s_and_saveexec_b64 s[10:11], s[2:3]
	s_cbranch_execz .LBB15_41
; %bb.43:                               ;   in Loop: Header=BB15_42 Depth=1
	v_cmp_eq_f32_e64 s[2:3], v25, v24
	s_mov_b64 s[12:13], 0
	s_and_saveexec_b64 s[14:15], s[2:3]
	s_cbranch_execz .LBB15_40
; %bb.44:                               ;   in Loop: Header=BB15_42 Depth=1
	ds_read_b32 v23, v23 offset:4
	ds_read_b32 v15, v15 offset:4
	s_waitcnt lgkmcnt(0)
	v_cmp_lt_f32_e64 s[2:3], v23, v15
	s_and_b64 s[12:13], s[2:3], exec
	s_branch .LBB15_40
.LBB15_45:
	s_or_b64 exec, exec, s[6:7]
.LBB15_46:
	s_or_b64 exec, exec, s[4:5]
	v_add_u32_e32 v8, v21, v8
	v_sub_u32_e32 v23, v8, v13
	v_lshl_add_u32 v14, v13, 3, v9
	v_lshl_add_u32 v25, v23, 3, v16
	ds_read_b64 v[8:9], v14
	ds_read_b64 v[10:11], v25
	v_cmp_le_i32_e64 s[2:3], v22, v23
                                        ; implicit-def: $sgpr6_sgpr7
	s_and_saveexec_b64 s[4:5], s[2:3]
	s_xor_b64 s[2:3], exec, s[4:5]
; %bb.47:
	s_mov_b64 s[6:7], 0
; %bb.48:
	s_or_saveexec_b64 s[8:9], s[2:3]
	v_add_u32_e32 v24, v13, v12
	s_xor_b64 exec, exec, s[8:9]
	s_cbranch_execz .LBB15_54
; %bb.49:
	v_cmp_gt_i32_e64 s[2:3], v21, v24
	s_waitcnt lgkmcnt(0)
	v_cmp_nlt_f32_e64 s[4:5], v10, v8
	s_and_b64 s[10:11], s[2:3], s[4:5]
	s_mov_b64 s[2:3], -1
	s_and_saveexec_b64 s[4:5], s[10:11]
	s_cbranch_execz .LBB15_53
; %bb.50:
	v_cmp_eq_f32_e64 s[2:3], v10, v8
	s_mov_b64 s[10:11], 0
	s_and_saveexec_b64 s[12:13], s[2:3]
; %bb.51:
	v_cmp_lt_f32_e64 s[2:3], v11, v9
	s_and_b64 s[10:11], s[2:3], exec
; %bb.52:
	s_or_b64 exec, exec, s[12:13]
	s_orn2_b64 s[2:3], s[10:11], exec
.LBB15_53:
	s_or_b64 exec, exec, s[4:5]
	s_andn2_b64 s[4:5], s[6:7], exec
	s_and_b64 s[2:3], s[2:3], exec
	s_or_b64 s[6:7], s[4:5], s[2:3]
.LBB15_54:
	s_or_b64 exec, exec, s[8:9]
	s_xor_b64 s[2:3], s[6:7], -1
                                        ; implicit-def: $vgpr12_vgpr13
	s_and_saveexec_b64 s[4:5], s[2:3]
	s_xor_b64 s[2:3], exec, s[4:5]
	s_cbranch_execz .LBB15_56
; %bb.55:
	ds_read_b64 v[12:13], v14 offset:8
                                        ; implicit-def: $vgpr25
.LBB15_56:
	s_or_saveexec_b64 s[2:3], s[2:3]
	s_waitcnt lgkmcnt(0)
	v_pk_mov_b32 v[14:15], v[10:11], v[10:11] op_sel:[0,1]
	s_xor_b64 exec, exec, s[2:3]
	s_cbranch_execz .LBB15_58
; %bb.57:
	ds_read_b64 v[14:15], v25 offset:8
	v_pk_mov_b32 v[12:13], v[8:9], v[8:9] op_sel:[0,1]
.LBB15_58:
	s_or_b64 exec, exec, s[2:3]
	v_add_u32_e32 v25, 1, v23
	v_add_u32_e32 v26, 1, v24
	v_cndmask_b32_e64 v25, v23, v25, s[6:7]
	v_cndmask_b32_e64 v26, v26, v24, s[6:7]
	v_cmp_lt_i32_e64 s[2:3], v25, v22
	s_mov_b64 s[4:5], 0
	s_and_saveexec_b64 s[8:9], s[2:3]
	s_cbranch_execz .LBB15_64
; %bb.59:
	v_cmp_lt_i32_e64 s[2:3], v26, v21
	s_waitcnt lgkmcnt(0)
	v_cmp_nlt_f32_e64 s[4:5], v14, v12
	s_and_b64 s[10:11], s[2:3], s[4:5]
	s_mov_b64 s[2:3], -1
	s_and_saveexec_b64 s[4:5], s[10:11]
	s_cbranch_execz .LBB15_63
; %bb.60:
	v_cmp_eq_f32_e64 s[2:3], v14, v12
	s_mov_b64 s[10:11], 0
	s_and_saveexec_b64 s[12:13], s[2:3]
; %bb.61:
	v_cmp_lt_f32_e64 s[2:3], v15, v13
	s_and_b64 s[10:11], s[2:3], exec
; %bb.62:
	s_or_b64 exec, exec, s[12:13]
	s_orn2_b64 s[2:3], s[10:11], exec
.LBB15_63:
	s_or_b64 exec, exec, s[4:5]
	s_and_b64 s[4:5], s[2:3], exec
.LBB15_64:
	s_or_b64 exec, exec, s[8:9]
	v_cndmask_b32_e64 v8, v8, v10, s[6:7]
	v_cndmask_b32_e64 v21, v24, v23, s[6:7]
	s_waitcnt lgkmcnt(0)
	v_cndmask_b32_e64 v10, v12, v14, s[4:5]
	v_cndmask_b32_e64 v12, v26, v25, s[4:5]
	;; [unrolled: 1-line block ×4, first 2 shown]
	; wave barrier
	ds_write2_b64 v17, v[0:1], v[2:3] offset1:1
	v_lshl_add_u32 v0, v21, 3, v16
	v_lshl_add_u32 v2, v12, 3, v16
	; wave barrier
	ds_read_b64 v[0:1], v0
	ds_read_b64 v[2:3], v2
	; wave barrier
	ds_write2_b64 v17, v[8:9], v[10:11] offset1:1
	v_and_b32_e32 v9, 48, v20
	v_min_i32_e32 v12, v18, v9
	v_add_u32_e32 v9, 8, v12
	v_min_i32_e32 v21, v18, v9
	v_add_u32_e32 v9, 8, v21
	v_and_b32_e32 v8, 14, v20
	v_min_i32_e32 v22, v18, v9
	v_min_i32_e32 v8, v18, v8
	v_sub_u32_e32 v11, v22, v21
	v_sub_u32_e32 v10, v21, v12
	;; [unrolled: 1-line block ×3, first 2 shown]
	v_cmp_ge_i32_e64 s[2:3], v8, v11
	v_cndmask_b32_e64 v13, 0, v13, s[2:3]
	v_min_i32_e32 v10, v8, v10
	v_lshl_add_u32 v9, v12, 3, v16
	v_cmp_lt_i32_e64 s[2:3], v13, v10
	; wave barrier
	s_and_saveexec_b64 s[4:5], s[2:3]
	s_cbranch_execz .LBB15_72
; %bb.65:
	v_lshlrev_b32_e32 v11, 3, v21
	v_lshlrev_b32_e32 v14, 3, v8
	v_add3_u32 v11, v16, v11, v14
	s_mov_b64 s[6:7], 0
                                        ; implicit-def: $sgpr8_sgpr9
	s_branch .LBB15_68
.LBB15_66:                              ;   in Loop: Header=BB15_68 Depth=1
	s_or_b64 exec, exec, s[14:15]
	s_andn2_b64 s[2:3], s[8:9], exec
	s_and_b64 s[8:9], s[12:13], exec
	s_or_b64 s[8:9], s[2:3], s[8:9]
.LBB15_67:                              ;   in Loop: Header=BB15_68 Depth=1
	s_or_b64 exec, exec, s[10:11]
	v_add_u32_e32 v15, 1, v14
	v_cndmask_b32_e64 v10, v10, v14, s[8:9]
	v_cndmask_b32_e64 v13, v15, v13, s[8:9]
	v_cmp_ge_i32_e64 s[2:3], v13, v10
	s_or_b64 s[6:7], s[2:3], s[6:7]
	s_andn2_b64 exec, exec, s[6:7]
	s_cbranch_execz .LBB15_71
.LBB15_68:                              ; =>This Inner Loop Header: Depth=1
	v_sub_u32_e32 v14, v10, v13
	v_lshrrev_b32_e32 v15, 31, v14
	v_add_u32_e32 v14, v14, v15
	v_ashrrev_i32_e32 v14, 1, v14
	v_add_u32_e32 v14, v14, v13
	v_lshl_add_u32 v15, v14, 3, v9
	v_not_b32_e32 v23, v14
	v_lshl_add_u32 v23, v23, 3, v11
	ds_read_b32 v24, v15
	ds_read_b32 v25, v23
	s_or_b64 s[8:9], s[8:9], exec
	s_waitcnt lgkmcnt(0)
	v_cmp_nlt_f32_e64 s[2:3], v25, v24
	s_and_saveexec_b64 s[10:11], s[2:3]
	s_cbranch_execz .LBB15_67
; %bb.69:                               ;   in Loop: Header=BB15_68 Depth=1
	v_cmp_eq_f32_e64 s[2:3], v25, v24
	s_mov_b64 s[12:13], 0
	s_and_saveexec_b64 s[14:15], s[2:3]
	s_cbranch_execz .LBB15_66
; %bb.70:                               ;   in Loop: Header=BB15_68 Depth=1
	ds_read_b32 v23, v23 offset:4
	ds_read_b32 v15, v15 offset:4
	s_waitcnt lgkmcnt(0)
	v_cmp_lt_f32_e64 s[2:3], v23, v15
	s_and_b64 s[12:13], s[2:3], exec
	s_branch .LBB15_66
.LBB15_71:
	s_or_b64 exec, exec, s[6:7]
.LBB15_72:
	s_or_b64 exec, exec, s[4:5]
	v_add_u32_e32 v8, v21, v8
	v_sub_u32_e32 v23, v8, v13
	v_lshl_add_u32 v14, v13, 3, v9
	v_lshl_add_u32 v25, v23, 3, v16
	ds_read_b64 v[8:9], v14
	ds_read_b64 v[10:11], v25
	v_cmp_le_i32_e64 s[2:3], v22, v23
                                        ; implicit-def: $sgpr6_sgpr7
	s_and_saveexec_b64 s[4:5], s[2:3]
	s_xor_b64 s[2:3], exec, s[4:5]
; %bb.73:
	s_mov_b64 s[6:7], 0
; %bb.74:
	s_or_saveexec_b64 s[8:9], s[2:3]
	v_add_u32_e32 v24, v13, v12
	s_xor_b64 exec, exec, s[8:9]
	s_cbranch_execz .LBB15_80
; %bb.75:
	v_cmp_gt_i32_e64 s[2:3], v21, v24
	s_waitcnt lgkmcnt(0)
	v_cmp_nlt_f32_e64 s[4:5], v10, v8
	s_and_b64 s[10:11], s[2:3], s[4:5]
	s_mov_b64 s[2:3], -1
	s_and_saveexec_b64 s[4:5], s[10:11]
	s_cbranch_execz .LBB15_79
; %bb.76:
	v_cmp_eq_f32_e64 s[2:3], v10, v8
	s_mov_b64 s[10:11], 0
	s_and_saveexec_b64 s[12:13], s[2:3]
; %bb.77:
	v_cmp_lt_f32_e64 s[2:3], v11, v9
	s_and_b64 s[10:11], s[2:3], exec
; %bb.78:
	s_or_b64 exec, exec, s[12:13]
	s_orn2_b64 s[2:3], s[10:11], exec
.LBB15_79:
	s_or_b64 exec, exec, s[4:5]
	s_andn2_b64 s[4:5], s[6:7], exec
	s_and_b64 s[2:3], s[2:3], exec
	s_or_b64 s[6:7], s[4:5], s[2:3]
.LBB15_80:
	s_or_b64 exec, exec, s[8:9]
	s_xor_b64 s[2:3], s[6:7], -1
                                        ; implicit-def: $vgpr12_vgpr13
	s_and_saveexec_b64 s[4:5], s[2:3]
	s_xor_b64 s[2:3], exec, s[4:5]
	s_cbranch_execz .LBB15_82
; %bb.81:
	ds_read_b64 v[12:13], v14 offset:8
                                        ; implicit-def: $vgpr25
.LBB15_82:
	s_or_saveexec_b64 s[2:3], s[2:3]
	s_waitcnt lgkmcnt(0)
	v_pk_mov_b32 v[14:15], v[10:11], v[10:11] op_sel:[0,1]
	s_xor_b64 exec, exec, s[2:3]
	s_cbranch_execz .LBB15_84
; %bb.83:
	ds_read_b64 v[14:15], v25 offset:8
	v_pk_mov_b32 v[12:13], v[8:9], v[8:9] op_sel:[0,1]
.LBB15_84:
	s_or_b64 exec, exec, s[2:3]
	v_add_u32_e32 v25, 1, v23
	v_add_u32_e32 v26, 1, v24
	v_cndmask_b32_e64 v25, v23, v25, s[6:7]
	v_cndmask_b32_e64 v26, v26, v24, s[6:7]
	v_cmp_lt_i32_e64 s[2:3], v25, v22
	s_mov_b64 s[4:5], 0
	s_and_saveexec_b64 s[8:9], s[2:3]
	s_cbranch_execz .LBB15_90
; %bb.85:
	v_cmp_lt_i32_e64 s[2:3], v26, v21
	s_waitcnt lgkmcnt(0)
	v_cmp_nlt_f32_e64 s[4:5], v14, v12
	s_and_b64 s[10:11], s[2:3], s[4:5]
	s_mov_b64 s[2:3], -1
	s_and_saveexec_b64 s[4:5], s[10:11]
	s_cbranch_execz .LBB15_89
; %bb.86:
	v_cmp_eq_f32_e64 s[2:3], v14, v12
	s_mov_b64 s[10:11], 0
	s_and_saveexec_b64 s[12:13], s[2:3]
; %bb.87:
	v_cmp_lt_f32_e64 s[2:3], v15, v13
	s_and_b64 s[10:11], s[2:3], exec
; %bb.88:
	s_or_b64 exec, exec, s[12:13]
	s_orn2_b64 s[2:3], s[10:11], exec
.LBB15_89:
	s_or_b64 exec, exec, s[4:5]
	s_and_b64 s[4:5], s[2:3], exec
.LBB15_90:
	s_or_b64 exec, exec, s[8:9]
	v_cndmask_b32_e64 v8, v8, v10, s[6:7]
	v_cndmask_b32_e64 v21, v24, v23, s[6:7]
	s_waitcnt lgkmcnt(0)
	v_cndmask_b32_e64 v10, v12, v14, s[4:5]
	v_cndmask_b32_e64 v12, v26, v25, s[4:5]
	;; [unrolled: 1-line block ×4, first 2 shown]
	; wave barrier
	ds_write2_b64 v17, v[0:1], v[2:3] offset1:1
	v_lshl_add_u32 v0, v21, 3, v16
	v_lshl_add_u32 v2, v12, 3, v16
	; wave barrier
	ds_read_b64 v[0:1], v0
	ds_read_b64 v[2:3], v2
	; wave barrier
	ds_write2_b64 v17, v[8:9], v[10:11] offset1:1
	v_and_b32_e32 v9, 32, v20
	v_min_i32_e32 v12, v18, v9
	v_add_u32_e32 v9, 16, v12
	v_and_b32_e32 v8, 30, v20
	v_min_i32_e32 v20, v18, v9
	v_add_u32_e32 v9, 16, v20
	v_min_i32_e32 v21, v18, v9
	v_min_i32_e32 v8, v18, v8
	v_sub_u32_e32 v11, v21, v20
	v_sub_u32_e32 v10, v20, v12
	v_sub_u32_e32 v13, v8, v11
	v_cmp_ge_i32_e64 s[2:3], v8, v11
	v_cndmask_b32_e64 v13, 0, v13, s[2:3]
	v_min_i32_e32 v10, v8, v10
	v_lshl_add_u32 v9, v12, 3, v16
	v_cmp_lt_i32_e64 s[2:3], v13, v10
	; wave barrier
	s_and_saveexec_b64 s[4:5], s[2:3]
	s_cbranch_execz .LBB15_98
; %bb.91:
	v_lshlrev_b32_e32 v11, 3, v20
	v_lshlrev_b32_e32 v14, 3, v8
	v_add3_u32 v11, v16, v11, v14
	s_mov_b64 s[6:7], 0
                                        ; implicit-def: $sgpr8_sgpr9
	s_branch .LBB15_94
.LBB15_92:                              ;   in Loop: Header=BB15_94 Depth=1
	s_or_b64 exec, exec, s[14:15]
	s_andn2_b64 s[2:3], s[8:9], exec
	s_and_b64 s[8:9], s[12:13], exec
	s_or_b64 s[8:9], s[2:3], s[8:9]
.LBB15_93:                              ;   in Loop: Header=BB15_94 Depth=1
	s_or_b64 exec, exec, s[10:11]
	v_add_u32_e32 v15, 1, v14
	v_cndmask_b32_e64 v10, v10, v14, s[8:9]
	v_cndmask_b32_e64 v13, v15, v13, s[8:9]
	v_cmp_ge_i32_e64 s[2:3], v13, v10
	s_or_b64 s[6:7], s[2:3], s[6:7]
	s_andn2_b64 exec, exec, s[6:7]
	s_cbranch_execz .LBB15_97
.LBB15_94:                              ; =>This Inner Loop Header: Depth=1
	v_sub_u32_e32 v14, v10, v13
	v_lshrrev_b32_e32 v15, 31, v14
	v_add_u32_e32 v14, v14, v15
	v_ashrrev_i32_e32 v14, 1, v14
	v_add_u32_e32 v14, v14, v13
	v_lshl_add_u32 v15, v14, 3, v9
	v_not_b32_e32 v22, v14
	v_lshl_add_u32 v22, v22, 3, v11
	ds_read_b32 v23, v15
	ds_read_b32 v24, v22
	s_or_b64 s[8:9], s[8:9], exec
	s_waitcnt lgkmcnt(0)
	v_cmp_nlt_f32_e64 s[2:3], v24, v23
	s_and_saveexec_b64 s[10:11], s[2:3]
	s_cbranch_execz .LBB15_93
; %bb.95:                               ;   in Loop: Header=BB15_94 Depth=1
	v_cmp_eq_f32_e64 s[2:3], v24, v23
	s_mov_b64 s[12:13], 0
	s_and_saveexec_b64 s[14:15], s[2:3]
	s_cbranch_execz .LBB15_92
; %bb.96:                               ;   in Loop: Header=BB15_94 Depth=1
	ds_read_b32 v22, v22 offset:4
	ds_read_b32 v15, v15 offset:4
	s_waitcnt lgkmcnt(0)
	v_cmp_lt_f32_e64 s[2:3], v22, v15
	s_and_b64 s[12:13], s[2:3], exec
	s_branch .LBB15_92
.LBB15_97:
	s_or_b64 exec, exec, s[6:7]
.LBB15_98:
	s_or_b64 exec, exec, s[4:5]
	v_add_u32_e32 v8, v20, v8
	v_sub_u32_e32 v22, v8, v13
	v_lshl_add_u32 v14, v13, 3, v9
	v_lshl_add_u32 v24, v22, 3, v16
	ds_read_b64 v[8:9], v14
	ds_read_b64 v[10:11], v24
	v_cmp_le_i32_e64 s[2:3], v21, v22
                                        ; implicit-def: $sgpr6_sgpr7
	s_and_saveexec_b64 s[4:5], s[2:3]
	s_xor_b64 s[2:3], exec, s[4:5]
; %bb.99:
	s_mov_b64 s[6:7], 0
; %bb.100:
	s_or_saveexec_b64 s[8:9], s[2:3]
	v_add_u32_e32 v23, v13, v12
	s_xor_b64 exec, exec, s[8:9]
	s_cbranch_execz .LBB15_106
; %bb.101:
	v_cmp_gt_i32_e64 s[2:3], v20, v23
	s_waitcnt lgkmcnt(0)
	v_cmp_nlt_f32_e64 s[4:5], v10, v8
	s_and_b64 s[10:11], s[2:3], s[4:5]
	s_mov_b64 s[2:3], -1
	s_and_saveexec_b64 s[4:5], s[10:11]
	s_cbranch_execz .LBB15_105
; %bb.102:
	v_cmp_eq_f32_e64 s[2:3], v10, v8
	s_mov_b64 s[10:11], 0
	s_and_saveexec_b64 s[12:13], s[2:3]
; %bb.103:
	v_cmp_lt_f32_e64 s[2:3], v11, v9
	s_and_b64 s[10:11], s[2:3], exec
; %bb.104:
	s_or_b64 exec, exec, s[12:13]
	s_orn2_b64 s[2:3], s[10:11], exec
.LBB15_105:
	s_or_b64 exec, exec, s[4:5]
	s_andn2_b64 s[4:5], s[6:7], exec
	s_and_b64 s[2:3], s[2:3], exec
	s_or_b64 s[6:7], s[4:5], s[2:3]
.LBB15_106:
	s_or_b64 exec, exec, s[8:9]
	s_xor_b64 s[2:3], s[6:7], -1
                                        ; implicit-def: $vgpr12_vgpr13
	s_and_saveexec_b64 s[4:5], s[2:3]
	s_xor_b64 s[2:3], exec, s[4:5]
	s_cbranch_execz .LBB15_108
; %bb.107:
	ds_read_b64 v[12:13], v14 offset:8
                                        ; implicit-def: $vgpr24
.LBB15_108:
	s_or_saveexec_b64 s[2:3], s[2:3]
	s_waitcnt lgkmcnt(0)
	v_pk_mov_b32 v[14:15], v[10:11], v[10:11] op_sel:[0,1]
	s_xor_b64 exec, exec, s[2:3]
	s_cbranch_execz .LBB15_110
; %bb.109:
	ds_read_b64 v[14:15], v24 offset:8
	v_pk_mov_b32 v[12:13], v[8:9], v[8:9] op_sel:[0,1]
.LBB15_110:
	s_or_b64 exec, exec, s[2:3]
	v_add_u32_e32 v24, 1, v22
	v_add_u32_e32 v25, 1, v23
	v_cndmask_b32_e64 v24, v22, v24, s[6:7]
	v_cndmask_b32_e64 v25, v25, v23, s[6:7]
	v_cmp_lt_i32_e64 s[2:3], v24, v21
	s_mov_b64 s[4:5], 0
	s_and_saveexec_b64 s[8:9], s[2:3]
	s_cbranch_execz .LBB15_116
; %bb.111:
	v_cmp_lt_i32_e64 s[2:3], v25, v20
	s_waitcnt lgkmcnt(0)
	v_cmp_nlt_f32_e64 s[4:5], v14, v12
	s_and_b64 s[10:11], s[2:3], s[4:5]
	s_mov_b64 s[2:3], -1
	s_and_saveexec_b64 s[4:5], s[10:11]
	s_cbranch_execz .LBB15_115
; %bb.112:
	v_cmp_eq_f32_e64 s[2:3], v14, v12
	s_mov_b64 s[10:11], 0
	s_and_saveexec_b64 s[12:13], s[2:3]
; %bb.113:
	v_cmp_lt_f32_e64 s[2:3], v15, v13
	s_and_b64 s[10:11], s[2:3], exec
; %bb.114:
	s_or_b64 exec, exec, s[12:13]
	s_orn2_b64 s[2:3], s[10:11], exec
.LBB15_115:
	s_or_b64 exec, exec, s[4:5]
	s_and_b64 s[4:5], s[2:3], exec
.LBB15_116:
	s_or_b64 exec, exec, s[8:9]
	v_cndmask_b32_e64 v8, v8, v10, s[6:7]
	v_cndmask_b32_e64 v20, v23, v22, s[6:7]
	s_waitcnt lgkmcnt(0)
	v_cndmask_b32_e64 v10, v12, v14, s[4:5]
	v_cndmask_b32_e64 v12, v25, v24, s[4:5]
	;; [unrolled: 1-line block ×4, first 2 shown]
	; wave barrier
	ds_write2_b64 v17, v[0:1], v[2:3] offset1:1
	v_lshl_add_u32 v0, v20, 3, v16
	v_lshl_add_u32 v2, v12, 3, v16
	v_min_i32_e32 v12, 0, v18
	; wave barrier
	ds_read_b64 v[0:1], v0
	ds_read_b64 v[2:3], v2
	; wave barrier
	ds_write2_b64 v17, v[8:9], v[10:11] offset1:1
	v_add_u32_e32 v9, 32, v12
	v_min_i32_e32 v8, v18, v19
	v_min_i32_e32 v19, v18, v9
	v_add_u32_e32 v9, 32, v19
	v_min_i32_e32 v18, v18, v9
	v_sub_u32_e32 v11, v18, v19
	v_sub_u32_e32 v10, v19, v12
	;; [unrolled: 1-line block ×3, first 2 shown]
	v_cmp_ge_i32_e64 s[2:3], v8, v11
	v_cndmask_b32_e64 v13, 0, v13, s[2:3]
	v_min_i32_e32 v10, v8, v10
	v_lshl_add_u32 v9, v12, 3, v16
	v_cmp_lt_i32_e64 s[2:3], v13, v10
	; wave barrier
	s_and_saveexec_b64 s[4:5], s[2:3]
	s_cbranch_execz .LBB15_124
; %bb.117:
	v_lshlrev_b32_e32 v11, 3, v19
	v_lshlrev_b32_e32 v14, 3, v8
	v_add3_u32 v11, v16, v11, v14
	s_mov_b64 s[6:7], 0
                                        ; implicit-def: $sgpr8_sgpr9
	s_branch .LBB15_120
.LBB15_118:                             ;   in Loop: Header=BB15_120 Depth=1
	s_or_b64 exec, exec, s[14:15]
	s_andn2_b64 s[2:3], s[8:9], exec
	s_and_b64 s[8:9], s[12:13], exec
	s_or_b64 s[8:9], s[2:3], s[8:9]
.LBB15_119:                             ;   in Loop: Header=BB15_120 Depth=1
	s_or_b64 exec, exec, s[10:11]
	v_add_u32_e32 v15, 1, v14
	v_cndmask_b32_e64 v10, v10, v14, s[8:9]
	v_cndmask_b32_e64 v13, v15, v13, s[8:9]
	v_cmp_ge_i32_e64 s[2:3], v13, v10
	s_or_b64 s[6:7], s[2:3], s[6:7]
	s_andn2_b64 exec, exec, s[6:7]
	s_cbranch_execz .LBB15_123
.LBB15_120:                             ; =>This Inner Loop Header: Depth=1
	v_sub_u32_e32 v14, v10, v13
	v_lshrrev_b32_e32 v15, 31, v14
	v_add_u32_e32 v14, v14, v15
	v_ashrrev_i32_e32 v14, 1, v14
	v_add_u32_e32 v14, v14, v13
	v_lshl_add_u32 v15, v14, 3, v9
	v_not_b32_e32 v20, v14
	v_lshl_add_u32 v20, v20, 3, v11
	ds_read_b32 v21, v15
	ds_read_b32 v22, v20
	s_or_b64 s[8:9], s[8:9], exec
	s_waitcnt lgkmcnt(0)
	v_cmp_nlt_f32_e64 s[2:3], v22, v21
	s_and_saveexec_b64 s[10:11], s[2:3]
	s_cbranch_execz .LBB15_119
; %bb.121:                              ;   in Loop: Header=BB15_120 Depth=1
	v_cmp_eq_f32_e64 s[2:3], v22, v21
	s_mov_b64 s[12:13], 0
	s_and_saveexec_b64 s[14:15], s[2:3]
	s_cbranch_execz .LBB15_118
; %bb.122:                              ;   in Loop: Header=BB15_120 Depth=1
	ds_read_b32 v20, v20 offset:4
	ds_read_b32 v15, v15 offset:4
	s_waitcnt lgkmcnt(0)
	v_cmp_lt_f32_e64 s[2:3], v20, v15
	s_and_b64 s[12:13], s[2:3], exec
	s_branch .LBB15_118
.LBB15_123:
	s_or_b64 exec, exec, s[6:7]
.LBB15_124:
	s_or_b64 exec, exec, s[4:5]
	v_add_u32_e32 v8, v8, v19
	v_sub_u32_e32 v20, v8, v13
	v_lshl_add_u32 v14, v13, 3, v9
	v_lshl_add_u32 v22, v20, 3, v16
	ds_read_b64 v[8:9], v14
	ds_read_b64 v[10:11], v22
	v_cmp_le_i32_e64 s[2:3], v18, v20
                                        ; implicit-def: $sgpr6_sgpr7
	s_and_saveexec_b64 s[4:5], s[2:3]
	s_xor_b64 s[2:3], exec, s[4:5]
; %bb.125:
	s_mov_b64 s[6:7], 0
; %bb.126:
	s_or_saveexec_b64 s[8:9], s[2:3]
	v_add_u32_e32 v21, v13, v12
	s_xor_b64 exec, exec, s[8:9]
	s_cbranch_execz .LBB15_132
; %bb.127:
	v_cmp_gt_i32_e64 s[2:3], v19, v21
	s_waitcnt lgkmcnt(0)
	v_cmp_nlt_f32_e64 s[4:5], v10, v8
	s_and_b64 s[10:11], s[2:3], s[4:5]
	s_mov_b64 s[2:3], -1
	s_and_saveexec_b64 s[4:5], s[10:11]
	s_cbranch_execz .LBB15_131
; %bb.128:
	v_cmp_eq_f32_e64 s[2:3], v10, v8
	s_mov_b64 s[10:11], 0
	s_and_saveexec_b64 s[12:13], s[2:3]
; %bb.129:
	v_cmp_lt_f32_e64 s[2:3], v11, v9
	s_and_b64 s[10:11], s[2:3], exec
; %bb.130:
	s_or_b64 exec, exec, s[12:13]
	s_orn2_b64 s[2:3], s[10:11], exec
.LBB15_131:
	s_or_b64 exec, exec, s[4:5]
	s_andn2_b64 s[4:5], s[6:7], exec
	s_and_b64 s[2:3], s[2:3], exec
	s_or_b64 s[6:7], s[4:5], s[2:3]
.LBB15_132:
	s_or_b64 exec, exec, s[8:9]
	s_xor_b64 s[2:3], s[6:7], -1
                                        ; implicit-def: $vgpr12_vgpr13
	s_and_saveexec_b64 s[4:5], s[2:3]
	s_xor_b64 s[2:3], exec, s[4:5]
	s_cbranch_execz .LBB15_134
; %bb.133:
	ds_read_b64 v[12:13], v14 offset:8
                                        ; implicit-def: $vgpr22
.LBB15_134:
	s_or_saveexec_b64 s[2:3], s[2:3]
	s_waitcnt lgkmcnt(0)
	v_pk_mov_b32 v[14:15], v[10:11], v[10:11] op_sel:[0,1]
	s_xor_b64 exec, exec, s[2:3]
	s_cbranch_execz .LBB15_136
; %bb.135:
	ds_read_b64 v[14:15], v22 offset:8
	v_pk_mov_b32 v[12:13], v[8:9], v[8:9] op_sel:[0,1]
.LBB15_136:
	s_or_b64 exec, exec, s[2:3]
	v_add_u32_e32 v22, 1, v20
	v_add_u32_e32 v23, 1, v21
	v_cndmask_b32_e64 v22, v20, v22, s[6:7]
	v_cndmask_b32_e64 v23, v23, v21, s[6:7]
	v_cmp_lt_i32_e64 s[2:3], v22, v18
	s_mov_b64 s[4:5], 0
	s_and_saveexec_b64 s[8:9], s[2:3]
	s_cbranch_execz .LBB15_142
; %bb.137:
	v_cmp_lt_i32_e64 s[2:3], v23, v19
	s_waitcnt lgkmcnt(0)
	v_cmp_nlt_f32_e64 s[4:5], v14, v12
	s_and_b64 s[10:11], s[2:3], s[4:5]
	s_mov_b64 s[2:3], -1
	s_and_saveexec_b64 s[4:5], s[10:11]
	s_cbranch_execz .LBB15_141
; %bb.138:
	v_cmp_eq_f32_e64 s[2:3], v14, v12
	s_mov_b64 s[10:11], 0
	s_and_saveexec_b64 s[12:13], s[2:3]
; %bb.139:
	v_cmp_lt_f32_e64 s[2:3], v15, v13
	s_and_b64 s[10:11], s[2:3], exec
; %bb.140:
	s_or_b64 exec, exec, s[12:13]
	s_orn2_b64 s[2:3], s[10:11], exec
.LBB15_141:
	s_or_b64 exec, exec, s[4:5]
	s_and_b64 s[4:5], s[2:3], exec
.LBB15_142:
	s_or_b64 exec, exec, s[8:9]
	v_cndmask_b32_e64 v18, v21, v20, s[6:7]
	v_cndmask_b32_e64 v19, v23, v22, s[4:5]
	; wave barrier
	ds_write2_b64 v17, v[0:1], v[2:3] offset1:1
	v_lshl_add_u32 v0, v18, 3, v16
	v_lshl_add_u32 v1, v19, 3, v16
	; wave barrier
	ds_read_b64 v[2:3], v0
	ds_read_b64 v[0:1], v1
	s_and_saveexec_b64 s[2:3], vcc
	s_cbranch_execnz .LBB15_147
; %bb.143:
	s_or_b64 exec, exec, s[2:3]
	s_and_saveexec_b64 s[2:3], s[0:1]
	s_cbranch_execnz .LBB15_148
.LBB15_144:
	s_or_b64 exec, exec, s[2:3]
	s_and_saveexec_b64 s[2:3], vcc
	s_cbranch_execnz .LBB15_149
.LBB15_145:
	s_or_b64 exec, exec, s[2:3]
	s_and_saveexec_b64 s[2:3], s[0:1]
	s_cbranch_execnz .LBB15_150
.LBB15_146:
	s_endpgm
.LBB15_147:
	v_cndmask_b32_e64 v8, v8, v10, s[6:7]
	v_cndmask_b32_e64 v9, v9, v11, s[6:7]
	global_store_dwordx2 v[4:5], v[8:9], off
	s_or_b64 exec, exec, s[2:3]
	s_and_saveexec_b64 s[2:3], s[0:1]
	s_cbranch_execz .LBB15_144
.LBB15_148:
	s_waitcnt lgkmcnt(3)
	v_cndmask_b32_e64 v9, v13, v15, s[4:5]
	v_cndmask_b32_e64 v8, v12, v14, s[4:5]
	global_store_dwordx2 v[4:5], v[8:9], off offset:8
	s_or_b64 exec, exec, s[2:3]
	s_and_saveexec_b64 s[2:3], vcc
	s_cbranch_execz .LBB15_145
.LBB15_149:
	s_waitcnt lgkmcnt(1)
	global_store_dwordx2 v[6:7], v[2:3], off
	s_or_b64 exec, exec, s[2:3]
	s_and_saveexec_b64 s[2:3], s[0:1]
	s_cbranch_execz .LBB15_146
.LBB15_150:
	s_waitcnt lgkmcnt(0)
	global_store_dwordx2 v[6:7], v[0:1], off offset:8
	s_endpgm
	.section	.rodata,"a",@progbits
	.p2align	6, 0x0
	.amdhsa_kernel _Z26sort_keys_values_segmentedILj256ELj32ELj2ELb0EN10test_utils16custom_test_typeIfEEyNS0_4lessEEvPT3_PT4_PKjT5_
		.amdhsa_group_segment_fixed_size 4160
		.amdhsa_private_segment_fixed_size 0
		.amdhsa_kernarg_size 28
		.amdhsa_user_sgpr_count 6
		.amdhsa_user_sgpr_private_segment_buffer 1
		.amdhsa_user_sgpr_dispatch_ptr 0
		.amdhsa_user_sgpr_queue_ptr 0
		.amdhsa_user_sgpr_kernarg_segment_ptr 1
		.amdhsa_user_sgpr_dispatch_id 0
		.amdhsa_user_sgpr_flat_scratch_init 0
		.amdhsa_user_sgpr_kernarg_preload_length 0
		.amdhsa_user_sgpr_kernarg_preload_offset 0
		.amdhsa_user_sgpr_private_segment_size 0
		.amdhsa_uses_dynamic_stack 0
		.amdhsa_system_sgpr_private_segment_wavefront_offset 0
		.amdhsa_system_sgpr_workgroup_id_x 1
		.amdhsa_system_sgpr_workgroup_id_y 0
		.amdhsa_system_sgpr_workgroup_id_z 0
		.amdhsa_system_sgpr_workgroup_info 0
		.amdhsa_system_vgpr_workitem_id 0
		.amdhsa_next_free_vgpr 27
		.amdhsa_next_free_sgpr 16
		.amdhsa_accum_offset 28
		.amdhsa_reserve_vcc 1
		.amdhsa_reserve_flat_scratch 0
		.amdhsa_float_round_mode_32 0
		.amdhsa_float_round_mode_16_64 0
		.amdhsa_float_denorm_mode_32 3
		.amdhsa_float_denorm_mode_16_64 3
		.amdhsa_dx10_clamp 1
		.amdhsa_ieee_mode 1
		.amdhsa_fp16_overflow 0
		.amdhsa_tg_split 0
		.amdhsa_exception_fp_ieee_invalid_op 0
		.amdhsa_exception_fp_denorm_src 0
		.amdhsa_exception_fp_ieee_div_zero 0
		.amdhsa_exception_fp_ieee_overflow 0
		.amdhsa_exception_fp_ieee_underflow 0
		.amdhsa_exception_fp_ieee_inexact 0
		.amdhsa_exception_int_div_zero 0
	.end_amdhsa_kernel
	.section	.text._Z26sort_keys_values_segmentedILj256ELj32ELj2ELb0EN10test_utils16custom_test_typeIfEEyNS0_4lessEEvPT3_PT4_PKjT5_,"axG",@progbits,_Z26sort_keys_values_segmentedILj256ELj32ELj2ELb0EN10test_utils16custom_test_typeIfEEyNS0_4lessEEvPT3_PT4_PKjT5_,comdat
.Lfunc_end15:
	.size	_Z26sort_keys_values_segmentedILj256ELj32ELj2ELb0EN10test_utils16custom_test_typeIfEEyNS0_4lessEEvPT3_PT4_PKjT5_, .Lfunc_end15-_Z26sort_keys_values_segmentedILj256ELj32ELj2ELb0EN10test_utils16custom_test_typeIfEEyNS0_4lessEEvPT3_PT4_PKjT5_
                                        ; -- End function
	.section	.AMDGPU.csdata,"",@progbits
; Kernel info:
; codeLenInByte = 4524
; NumSgprs: 20
; NumVgprs: 27
; NumAgprs: 0
; TotalNumVgprs: 27
; ScratchSize: 0
; MemoryBound: 1
; FloatMode: 240
; IeeeMode: 1
; LDSByteSize: 4160 bytes/workgroup (compile time only)
; SGPRBlocks: 2
; VGPRBlocks: 3
; NumSGPRsForWavesPerEU: 20
; NumVGPRsForWavesPerEU: 27
; AccumOffset: 28
; Occupancy: 8
; WaveLimiterHint : 0
; COMPUTE_PGM_RSRC2:SCRATCH_EN: 0
; COMPUTE_PGM_RSRC2:USER_SGPR: 6
; COMPUTE_PGM_RSRC2:TRAP_HANDLER: 0
; COMPUTE_PGM_RSRC2:TGID_X_EN: 1
; COMPUTE_PGM_RSRC2:TGID_Y_EN: 0
; COMPUTE_PGM_RSRC2:TGID_Z_EN: 0
; COMPUTE_PGM_RSRC2:TIDIG_COMP_CNT: 0
; COMPUTE_PGM_RSRC3_GFX90A:ACCUM_OFFSET: 6
; COMPUTE_PGM_RSRC3_GFX90A:TG_SPLIT: 0
	.section	.text._Z26sort_keys_values_segmentedILj32ELj32ELj1ELb0E12hip_bfloat16iN10test_utils4lessEEvPT3_PT4_PKjT5_,"axG",@progbits,_Z26sort_keys_values_segmentedILj32ELj32ELj1ELb0E12hip_bfloat16iN10test_utils4lessEEvPT3_PT4_PKjT5_,comdat
	.protected	_Z26sort_keys_values_segmentedILj32ELj32ELj1ELb0E12hip_bfloat16iN10test_utils4lessEEvPT3_PT4_PKjT5_ ; -- Begin function _Z26sort_keys_values_segmentedILj32ELj32ELj1ELb0E12hip_bfloat16iN10test_utils4lessEEvPT3_PT4_PKjT5_
	.globl	_Z26sort_keys_values_segmentedILj32ELj32ELj1ELb0E12hip_bfloat16iN10test_utils4lessEEvPT3_PT4_PKjT5_
	.p2align	8
	.type	_Z26sort_keys_values_segmentedILj32ELj32ELj1ELb0E12hip_bfloat16iN10test_utils4lessEEvPT3_PT4_PKjT5_,@function
_Z26sort_keys_values_segmentedILj32ELj32ELj1ELb0E12hip_bfloat16iN10test_utils4lessEEvPT3_PT4_PKjT5_: ; @_Z26sort_keys_values_segmentedILj32ELj32ELj1ELb0E12hip_bfloat16iN10test_utils4lessEEvPT3_PT4_PKjT5_
; %bb.0:
	s_load_dwordx4 s[0:3], s[4:5], 0x0
	s_load_dwordx2 s[8:9], s[4:5], 0x10
	s_mov_b32 s7, 0
	s_lshl_b64 s[4:5], s[6:7], 2
	v_mbcnt_lo_u32_b32 v0, -1, 0
	v_mbcnt_hi_u32_b32 v8, -1, v0
	s_waitcnt lgkmcnt(0)
	s_add_u32 s4, s8, s4
	s_addc_u32 s5, s9, s5
	s_load_dword s8, s[4:5], 0x0
	s_lshl_b32 s6, s6, 5
	s_lshl_b64 s[4:5], s[6:7], 1
	s_add_u32 s0, s0, s4
	v_and_b32_e32 v6, 31, v8
	s_addc_u32 s1, s1, s5
	v_pk_mov_b32 v[0:1], s[0:1], s[0:1] op_sel:[0,1]
	s_waitcnt lgkmcnt(0)
	v_cmp_gt_u32_e32 vcc, s8, v6
	v_lshlrev_b32_e32 v2, 1, v6
                                        ; implicit-def: $vgpr7
	s_and_saveexec_b64 s[4:5], vcc
	s_cbranch_execz .LBB16_2
; %bb.1:
	v_add_co_u32_e64 v4, s[0:1], v0, v2
	v_addc_co_u32_e64 v5, s[0:1], 0, v1, s[0:1]
	global_load_ushort v7, v[4:5], off
.LBB16_2:
	s_or_b64 exec, exec, s[4:5]
	v_lshlrev_b64 v[4:5], 2, s[6:7]
	v_mov_b32_e32 v9, s3
	v_add_co_u32_e64 v3, s[0:1], s2, v4
	v_addc_co_u32_e64 v4, s[0:1], v9, v5, s[0:1]
	v_lshlrev_b32_e32 v5, 2, v6
                                        ; implicit-def: $vgpr9
	s_and_saveexec_b64 s[2:3], vcc
	s_cbranch_execz .LBB16_4
; %bb.3:
	v_add_co_u32_e64 v10, s[0:1], v3, v5
	v_addc_co_u32_e64 v11, s[0:1], 0, v4, s[0:1]
	global_load_dword v9, v[10:11], off
.LBB16_4:
	s_or_b64 exec, exec, s[2:3]
	; wave barrier
	s_waitcnt vmcnt(0)
	ds_write_b16 v2, v7
	v_and_b32_e32 v7, 30, v8
	v_and_b32_e32 v10, 1, v8
	v_min_i32_e32 v7, s8, v7
	v_min_i32_e32 v12, s8, v10
	v_add_u32_e32 v10, 1, v7
	v_min_i32_e32 v10, s8, v10
	v_add_u32_e32 v11, 1, v10
	v_min_i32_e32 v11, s8, v11
	v_sub_u32_e32 v13, v11, v10
	v_sub_u32_e32 v15, v10, v7
	;; [unrolled: 1-line block ×3, first 2 shown]
	v_cmp_ge_i32_e64 s[0:1], v12, v13
	v_cndmask_b32_e64 v13, 0, v16, s[0:1]
	v_min_i32_e32 v15, v12, v15
	v_lshlrev_b32_e32 v14, 1, v7
	v_cmp_lt_i32_e64 s[0:1], v13, v15
	; wave barrier
	s_and_saveexec_b64 s[2:3], s[0:1]
	s_cbranch_execz .LBB16_8
; %bb.5:
	v_lshlrev_b32_e32 v16, 1, v12
	v_lshl_add_u32 v16, v10, 1, v16
	s_mov_b64 s[4:5], 0
.LBB16_6:                               ; =>This Inner Loop Header: Depth=1
	v_sub_u32_e32 v17, v15, v13
	v_lshrrev_b32_e32 v18, 31, v17
	v_add_u32_e32 v17, v17, v18
	v_ashrrev_i32_e32 v17, 1, v17
	v_add_u32_e32 v17, v17, v13
	v_not_b32_e32 v19, v17
	v_lshl_add_u32 v18, v17, 1, v14
	v_lshl_add_u32 v19, v19, 1, v16
	ds_read_u16 v18, v18
	ds_read_u16 v19, v19
	v_add_u32_e32 v20, 1, v17
	s_waitcnt lgkmcnt(1)
	v_lshlrev_b32_e32 v18, 16, v18
	s_waitcnt lgkmcnt(0)
	v_lshlrev_b32_e32 v19, 16, v19
	v_cmp_lt_f32_e64 s[0:1], v19, v18
	v_cndmask_b32_e64 v15, v15, v17, s[0:1]
	v_cndmask_b32_e64 v13, v20, v13, s[0:1]
	v_cmp_ge_i32_e64 s[0:1], v13, v15
	s_or_b64 s[4:5], s[0:1], s[4:5]
	s_andn2_b64 exec, exec, s[4:5]
	s_cbranch_execnz .LBB16_6
; %bb.7:
	s_or_b64 exec, exec, s[4:5]
.LBB16_8:
	s_or_b64 exec, exec, s[2:3]
	v_add_u32_e32 v12, v10, v12
	v_sub_u32_e32 v12, v12, v13
	v_lshl_add_u32 v14, v13, 1, v14
	v_lshlrev_b32_e32 v15, 1, v12
	ds_read_u16 v14, v14
	ds_read_u16 v15, v15
	v_add_u32_e32 v7, v13, v7
	v_cmp_gt_i32_e64 s[0:1], v11, v12
	v_cmp_le_i32_e64 s[2:3], v10, v7
	s_waitcnt lgkmcnt(1)
	v_lshlrev_b32_e32 v10, 16, v14
	s_waitcnt lgkmcnt(0)
	v_lshlrev_b32_e32 v11, 16, v15
	v_cmp_lt_f32_e64 s[4:5], v11, v10
	s_or_b64 s[2:3], s[2:3], s[4:5]
	s_and_b64 s[0:1], s[0:1], s[2:3]
	v_cndmask_b32_e64 v11, v7, v12, s[0:1]
	v_add_u32_e32 v7, v2, v2
	v_cndmask_b32_e64 v10, v14, v15, s[0:1]
	; wave barrier
	ds_write_b32 v7, v9
	v_lshlrev_b32_e32 v9, 2, v11
	; wave barrier
	ds_read_b32 v9, v9
	; wave barrier
	ds_write_b16 v2, v10
	v_and_b32_e32 v10, 28, v8
	v_and_b32_e32 v11, 3, v8
	v_min_i32_e32 v10, s8, v10
	v_min_i32_e32 v13, s8, v11
	v_add_u32_e32 v11, 2, v10
	v_min_i32_e32 v11, s8, v11
	v_add_u32_e32 v12, 2, v11
	v_min_i32_e32 v12, s8, v12
	v_sub_u32_e32 v14, v12, v11
	v_sub_u32_e32 v16, v11, v10
	;; [unrolled: 1-line block ×3, first 2 shown]
	v_cmp_ge_i32_e64 s[0:1], v13, v14
	v_cndmask_b32_e64 v14, 0, v17, s[0:1]
	v_min_i32_e32 v16, v13, v16
	v_lshlrev_b32_e32 v15, 1, v10
	v_cmp_lt_i32_e64 s[0:1], v14, v16
	; wave barrier
	s_and_saveexec_b64 s[2:3], s[0:1]
	s_cbranch_execz .LBB16_12
; %bb.9:
	v_lshlrev_b32_e32 v17, 1, v13
	v_lshl_add_u32 v17, v11, 1, v17
	s_mov_b64 s[4:5], 0
.LBB16_10:                              ; =>This Inner Loop Header: Depth=1
	v_sub_u32_e32 v18, v16, v14
	v_lshrrev_b32_e32 v19, 31, v18
	v_add_u32_e32 v18, v18, v19
	v_ashrrev_i32_e32 v18, 1, v18
	v_add_u32_e32 v18, v18, v14
	v_not_b32_e32 v20, v18
	v_lshl_add_u32 v19, v18, 1, v15
	v_lshl_add_u32 v20, v20, 1, v17
	ds_read_u16 v19, v19
	ds_read_u16 v20, v20
	v_add_u32_e32 v21, 1, v18
	s_waitcnt lgkmcnt(1)
	v_lshlrev_b32_e32 v19, 16, v19
	s_waitcnt lgkmcnt(0)
	v_lshlrev_b32_e32 v20, 16, v20
	v_cmp_lt_f32_e64 s[0:1], v20, v19
	v_cndmask_b32_e64 v16, v16, v18, s[0:1]
	v_cndmask_b32_e64 v14, v21, v14, s[0:1]
	v_cmp_ge_i32_e64 s[0:1], v14, v16
	s_or_b64 s[4:5], s[0:1], s[4:5]
	s_andn2_b64 exec, exec, s[4:5]
	s_cbranch_execnz .LBB16_10
; %bb.11:
	s_or_b64 exec, exec, s[4:5]
.LBB16_12:
	s_or_b64 exec, exec, s[2:3]
	v_add_u32_e32 v13, v11, v13
	v_sub_u32_e32 v13, v13, v14
	v_lshl_add_u32 v15, v14, 1, v15
	v_lshlrev_b32_e32 v16, 1, v13
	ds_read_u16 v15, v15
	ds_read_u16 v16, v16
	v_add_u32_e32 v10, v14, v10
	v_cmp_gt_i32_e64 s[0:1], v12, v13
	v_cmp_le_i32_e64 s[2:3], v11, v10
	s_waitcnt lgkmcnt(1)
	v_lshlrev_b32_e32 v11, 16, v15
	s_waitcnt lgkmcnt(0)
	v_lshlrev_b32_e32 v12, 16, v16
	v_cmp_lt_f32_e64 s[4:5], v12, v11
	s_or_b64 s[2:3], s[2:3], s[4:5]
	s_and_b64 s[0:1], s[0:1], s[2:3]
	v_cndmask_b32_e64 v10, v10, v13, s[0:1]
	v_cndmask_b32_e64 v11, v15, v16, s[0:1]
	; wave barrier
	ds_write_b32 v7, v9
	v_lshlrev_b32_e32 v9, 2, v10
	v_and_b32_e32 v10, 24, v8
	; wave barrier
	ds_read_b32 v9, v9
	; wave barrier
	ds_write_b16 v2, v11
	v_and_b32_e32 v11, 7, v8
	v_min_i32_e32 v10, s8, v10
	v_min_i32_e32 v13, s8, v11
	v_add_u32_e32 v11, 4, v10
	v_min_i32_e32 v11, s8, v11
	v_add_u32_e32 v12, 4, v11
	v_min_i32_e32 v12, s8, v12
	v_sub_u32_e32 v14, v12, v11
	v_sub_u32_e32 v16, v11, v10
	v_sub_u32_e32 v17, v13, v14
	v_cmp_ge_i32_e64 s[0:1], v13, v14
	v_cndmask_b32_e64 v14, 0, v17, s[0:1]
	v_min_i32_e32 v16, v13, v16
	v_lshlrev_b32_e32 v15, 1, v10
	v_cmp_lt_i32_e64 s[0:1], v14, v16
	; wave barrier
	s_and_saveexec_b64 s[2:3], s[0:1]
	s_cbranch_execz .LBB16_16
; %bb.13:
	v_lshlrev_b32_e32 v17, 1, v13
	v_lshl_add_u32 v17, v11, 1, v17
	s_mov_b64 s[4:5], 0
.LBB16_14:                              ; =>This Inner Loop Header: Depth=1
	v_sub_u32_e32 v18, v16, v14
	v_lshrrev_b32_e32 v19, 31, v18
	v_add_u32_e32 v18, v18, v19
	v_ashrrev_i32_e32 v18, 1, v18
	v_add_u32_e32 v18, v18, v14
	v_not_b32_e32 v20, v18
	v_lshl_add_u32 v19, v18, 1, v15
	v_lshl_add_u32 v20, v20, 1, v17
	ds_read_u16 v19, v19
	ds_read_u16 v20, v20
	v_add_u32_e32 v21, 1, v18
	s_waitcnt lgkmcnt(1)
	v_lshlrev_b32_e32 v19, 16, v19
	s_waitcnt lgkmcnt(0)
	v_lshlrev_b32_e32 v20, 16, v20
	v_cmp_lt_f32_e64 s[0:1], v20, v19
	v_cndmask_b32_e64 v16, v16, v18, s[0:1]
	v_cndmask_b32_e64 v14, v21, v14, s[0:1]
	v_cmp_ge_i32_e64 s[0:1], v14, v16
	s_or_b64 s[4:5], s[0:1], s[4:5]
	s_andn2_b64 exec, exec, s[4:5]
	s_cbranch_execnz .LBB16_14
; %bb.15:
	s_or_b64 exec, exec, s[4:5]
.LBB16_16:
	s_or_b64 exec, exec, s[2:3]
	v_add_u32_e32 v13, v11, v13
	v_sub_u32_e32 v13, v13, v14
	v_lshl_add_u32 v15, v14, 1, v15
	v_lshlrev_b32_e32 v16, 1, v13
	ds_read_u16 v15, v15
	ds_read_u16 v16, v16
	v_add_u32_e32 v10, v14, v10
	v_cmp_gt_i32_e64 s[0:1], v12, v13
	v_cmp_le_i32_e64 s[2:3], v11, v10
	s_waitcnt lgkmcnt(1)
	v_lshlrev_b32_e32 v11, 16, v15
	s_waitcnt lgkmcnt(0)
	v_lshlrev_b32_e32 v12, 16, v16
	v_cmp_lt_f32_e64 s[4:5], v12, v11
	s_or_b64 s[2:3], s[2:3], s[4:5]
	s_and_b64 s[0:1], s[0:1], s[2:3]
	v_cndmask_b32_e64 v10, v10, v13, s[0:1]
	; wave barrier
	ds_write_b32 v7, v9
	v_lshlrev_b32_e32 v9, 2, v10
	v_and_b32_e32 v10, 16, v8
	v_and_b32_e32 v8, 15, v8
	v_min_i32_e32 v12, s8, v8
	v_min_i32_e32 v8, s8, v10
	v_add_u32_e32 v10, 8, v8
	v_cndmask_b32_e64 v11, v15, v16, s[0:1]
	v_min_i32_e32 v10, s8, v10
	; wave barrier
	ds_read_b32 v9, v9
	; wave barrier
	ds_write_b16 v2, v11
	v_add_u32_e32 v11, 8, v10
	v_min_i32_e32 v11, s8, v11
	v_sub_u32_e32 v13, v11, v10
	v_sub_u32_e32 v15, v10, v8
	;; [unrolled: 1-line block ×3, first 2 shown]
	v_cmp_ge_i32_e64 s[0:1], v12, v13
	v_cndmask_b32_e64 v13, 0, v16, s[0:1]
	v_min_i32_e32 v15, v12, v15
	v_lshlrev_b32_e32 v14, 1, v8
	v_cmp_lt_i32_e64 s[0:1], v13, v15
	; wave barrier
	s_and_saveexec_b64 s[2:3], s[0:1]
	s_cbranch_execz .LBB16_20
; %bb.17:
	v_lshlrev_b32_e32 v16, 1, v12
	v_lshl_add_u32 v16, v10, 1, v16
	s_mov_b64 s[4:5], 0
.LBB16_18:                              ; =>This Inner Loop Header: Depth=1
	v_sub_u32_e32 v17, v15, v13
	v_lshrrev_b32_e32 v18, 31, v17
	v_add_u32_e32 v17, v17, v18
	v_ashrrev_i32_e32 v17, 1, v17
	v_add_u32_e32 v17, v17, v13
	v_not_b32_e32 v19, v17
	v_lshl_add_u32 v18, v17, 1, v14
	v_lshl_add_u32 v19, v19, 1, v16
	ds_read_u16 v18, v18
	ds_read_u16 v19, v19
	v_add_u32_e32 v20, 1, v17
	s_waitcnt lgkmcnt(1)
	v_lshlrev_b32_e32 v18, 16, v18
	s_waitcnt lgkmcnt(0)
	v_lshlrev_b32_e32 v19, 16, v19
	v_cmp_lt_f32_e64 s[0:1], v19, v18
	v_cndmask_b32_e64 v15, v15, v17, s[0:1]
	v_cndmask_b32_e64 v13, v20, v13, s[0:1]
	v_cmp_ge_i32_e64 s[0:1], v13, v15
	s_or_b64 s[4:5], s[0:1], s[4:5]
	s_andn2_b64 exec, exec, s[4:5]
	s_cbranch_execnz .LBB16_18
; %bb.19:
	s_or_b64 exec, exec, s[4:5]
.LBB16_20:
	s_or_b64 exec, exec, s[2:3]
	v_add_u32_e32 v12, v10, v12
	v_sub_u32_e32 v12, v12, v13
	v_lshl_add_u32 v14, v13, 1, v14
	v_lshlrev_b32_e32 v15, 1, v12
	ds_read_u16 v14, v14
	ds_read_u16 v15, v15
	v_add_u32_e32 v8, v13, v8
	v_cmp_gt_i32_e64 s[0:1], v11, v12
	v_cmp_le_i32_e64 s[2:3], v10, v8
	s_waitcnt lgkmcnt(1)
	v_lshlrev_b32_e32 v10, 16, v14
	s_waitcnt lgkmcnt(0)
	v_lshlrev_b32_e32 v11, 16, v15
	v_cmp_lt_f32_e64 s[4:5], v11, v10
	s_or_b64 s[2:3], s[2:3], s[4:5]
	s_and_b64 s[0:1], s[0:1], s[2:3]
	v_cndmask_b32_e64 v8, v8, v12, s[0:1]
	v_lshlrev_b32_e32 v8, 2, v8
	v_min_i32_e32 v12, s8, v6
	v_min_i32_e64 v6, s8, 0
	; wave barrier
	ds_write_b32 v7, v9
	; wave barrier
	ds_read_b32 v9, v8
	v_add_u32_e32 v8, 16, v6
	v_cndmask_b32_e64 v10, v14, v15, s[0:1]
	v_min_i32_e32 v8, s8, v8
	; wave barrier
	ds_write_b16 v2, v10
	v_add_u32_e32 v10, 16, v8
	v_min_i32_e32 v10, s8, v10
	v_sub_u32_e32 v11, v10, v8
	v_sub_u32_e32 v14, v8, v6
	;; [unrolled: 1-line block ×3, first 2 shown]
	v_cmp_ge_i32_e64 s[0:1], v12, v11
	v_cndmask_b32_e64 v11, 0, v15, s[0:1]
	v_min_i32_e32 v14, v12, v14
	v_lshlrev_b32_e32 v13, 1, v6
	v_cmp_lt_i32_e64 s[0:1], v11, v14
	; wave barrier
	s_and_saveexec_b64 s[2:3], s[0:1]
	s_cbranch_execz .LBB16_24
; %bb.21:
	v_lshlrev_b32_e32 v15, 1, v12
	v_lshl_add_u32 v15, v8, 1, v15
	s_mov_b64 s[4:5], 0
.LBB16_22:                              ; =>This Inner Loop Header: Depth=1
	v_sub_u32_e32 v16, v14, v11
	v_lshrrev_b32_e32 v17, 31, v16
	v_add_u32_e32 v16, v16, v17
	v_ashrrev_i32_e32 v16, 1, v16
	v_add_u32_e32 v16, v16, v11
	v_not_b32_e32 v18, v16
	v_lshl_add_u32 v17, v16, 1, v13
	v_lshl_add_u32 v18, v18, 1, v15
	ds_read_u16 v17, v17
	ds_read_u16 v18, v18
	v_add_u32_e32 v19, 1, v16
	s_waitcnt lgkmcnt(1)
	v_lshlrev_b32_e32 v17, 16, v17
	s_waitcnt lgkmcnt(0)
	v_lshlrev_b32_e32 v18, 16, v18
	v_cmp_lt_f32_e64 s[0:1], v18, v17
	v_cndmask_b32_e64 v14, v14, v16, s[0:1]
	v_cndmask_b32_e64 v11, v19, v11, s[0:1]
	v_cmp_ge_i32_e64 s[0:1], v11, v14
	s_or_b64 s[4:5], s[0:1], s[4:5]
	s_andn2_b64 exec, exec, s[4:5]
	s_cbranch_execnz .LBB16_22
; %bb.23:
	s_or_b64 exec, exec, s[4:5]
.LBB16_24:
	s_or_b64 exec, exec, s[2:3]
	v_add_u32_e32 v12, v8, v12
	v_sub_u32_e32 v14, v12, v11
	v_lshl_add_u32 v12, v11, 1, v13
	v_lshlrev_b32_e32 v13, 1, v14
	ds_read_u16 v12, v12
	ds_read_u16 v13, v13
	; wave barrier
	s_waitcnt lgkmcnt(3)
	ds_write_b32 v7, v9
	; wave barrier
	s_and_saveexec_b64 s[0:1], vcc
	s_cbranch_execz .LBB16_26
; %bb.25:
	v_add_u32_e32 v6, v11, v6
	v_cmp_le_i32_e64 s[0:1], v8, v6
	s_waitcnt lgkmcnt(2)
	v_lshlrev_b32_e32 v7, 16, v12
	s_waitcnt lgkmcnt(1)
	v_lshlrev_b32_e32 v8, 16, v13
	v_cmp_lt_f32_e64 s[2:3], v8, v7
	v_cmp_gt_i32_e32 vcc, v10, v14
	s_or_b64 s[0:1], s[0:1], s[2:3]
	s_and_b64 vcc, vcc, s[0:1]
	v_cndmask_b32_e32 v6, v6, v14, vcc
	v_lshlrev_b32_e32 v6, 2, v6
	ds_read_b32 v6, v6
	v_add_co_u32_e64 v0, s[0:1], v0, v2
	v_addc_co_u32_e64 v1, s[0:1], 0, v1, s[0:1]
	v_cndmask_b32_e32 v2, v12, v13, vcc
	global_store_short v[0:1], v2, off
	v_add_co_u32_e32 v0, vcc, v3, v5
	v_addc_co_u32_e32 v1, vcc, 0, v4, vcc
	s_waitcnt lgkmcnt(0)
	global_store_dword v[0:1], v6, off
.LBB16_26:
	s_endpgm
	.section	.rodata,"a",@progbits
	.p2align	6, 0x0
	.amdhsa_kernel _Z26sort_keys_values_segmentedILj32ELj32ELj1ELb0E12hip_bfloat16iN10test_utils4lessEEvPT3_PT4_PKjT5_
		.amdhsa_group_segment_fixed_size 132
		.amdhsa_private_segment_fixed_size 0
		.amdhsa_kernarg_size 28
		.amdhsa_user_sgpr_count 6
		.amdhsa_user_sgpr_private_segment_buffer 1
		.amdhsa_user_sgpr_dispatch_ptr 0
		.amdhsa_user_sgpr_queue_ptr 0
		.amdhsa_user_sgpr_kernarg_segment_ptr 1
		.amdhsa_user_sgpr_dispatch_id 0
		.amdhsa_user_sgpr_flat_scratch_init 0
		.amdhsa_user_sgpr_kernarg_preload_length 0
		.amdhsa_user_sgpr_kernarg_preload_offset 0
		.amdhsa_user_sgpr_private_segment_size 0
		.amdhsa_uses_dynamic_stack 0
		.amdhsa_system_sgpr_private_segment_wavefront_offset 0
		.amdhsa_system_sgpr_workgroup_id_x 1
		.amdhsa_system_sgpr_workgroup_id_y 0
		.amdhsa_system_sgpr_workgroup_id_z 0
		.amdhsa_system_sgpr_workgroup_info 0
		.amdhsa_system_vgpr_workitem_id 0
		.amdhsa_next_free_vgpr 22
		.amdhsa_next_free_sgpr 10
		.amdhsa_accum_offset 24
		.amdhsa_reserve_vcc 1
		.amdhsa_reserve_flat_scratch 0
		.amdhsa_float_round_mode_32 0
		.amdhsa_float_round_mode_16_64 0
		.amdhsa_float_denorm_mode_32 3
		.amdhsa_float_denorm_mode_16_64 3
		.amdhsa_dx10_clamp 1
		.amdhsa_ieee_mode 1
		.amdhsa_fp16_overflow 0
		.amdhsa_tg_split 0
		.amdhsa_exception_fp_ieee_invalid_op 0
		.amdhsa_exception_fp_denorm_src 0
		.amdhsa_exception_fp_ieee_div_zero 0
		.amdhsa_exception_fp_ieee_overflow 0
		.amdhsa_exception_fp_ieee_underflow 0
		.amdhsa_exception_fp_ieee_inexact 0
		.amdhsa_exception_int_div_zero 0
	.end_amdhsa_kernel
	.section	.text._Z26sort_keys_values_segmentedILj32ELj32ELj1ELb0E12hip_bfloat16iN10test_utils4lessEEvPT3_PT4_PKjT5_,"axG",@progbits,_Z26sort_keys_values_segmentedILj32ELj32ELj1ELb0E12hip_bfloat16iN10test_utils4lessEEvPT3_PT4_PKjT5_,comdat
.Lfunc_end16:
	.size	_Z26sort_keys_values_segmentedILj32ELj32ELj1ELb0E12hip_bfloat16iN10test_utils4lessEEvPT3_PT4_PKjT5_, .Lfunc_end16-_Z26sort_keys_values_segmentedILj32ELj32ELj1ELb0E12hip_bfloat16iN10test_utils4lessEEvPT3_PT4_PKjT5_
                                        ; -- End function
	.section	.AMDGPU.csdata,"",@progbits
; Kernel info:
; codeLenInByte = 2056
; NumSgprs: 14
; NumVgprs: 22
; NumAgprs: 0
; TotalNumVgprs: 22
; ScratchSize: 0
; MemoryBound: 0
; FloatMode: 240
; IeeeMode: 1
; LDSByteSize: 132 bytes/workgroup (compile time only)
; SGPRBlocks: 1
; VGPRBlocks: 2
; NumSGPRsForWavesPerEU: 14
; NumVGPRsForWavesPerEU: 22
; AccumOffset: 24
; Occupancy: 8
; WaveLimiterHint : 0
; COMPUTE_PGM_RSRC2:SCRATCH_EN: 0
; COMPUTE_PGM_RSRC2:USER_SGPR: 6
; COMPUTE_PGM_RSRC2:TRAP_HANDLER: 0
; COMPUTE_PGM_RSRC2:TGID_X_EN: 1
; COMPUTE_PGM_RSRC2:TGID_Y_EN: 0
; COMPUTE_PGM_RSRC2:TGID_Z_EN: 0
; COMPUTE_PGM_RSRC2:TIDIG_COMP_CNT: 0
; COMPUTE_PGM_RSRC3_GFX90A:ACCUM_OFFSET: 5
; COMPUTE_PGM_RSRC3_GFX90A:TG_SPLIT: 0
	.section	.text._Z26sort_keys_values_segmentedILj32ELj32ELj1ELb0E6__halfiN10test_utils4lessEEvPT3_PT4_PKjT5_,"axG",@progbits,_Z26sort_keys_values_segmentedILj32ELj32ELj1ELb0E6__halfiN10test_utils4lessEEvPT3_PT4_PKjT5_,comdat
	.protected	_Z26sort_keys_values_segmentedILj32ELj32ELj1ELb0E6__halfiN10test_utils4lessEEvPT3_PT4_PKjT5_ ; -- Begin function _Z26sort_keys_values_segmentedILj32ELj32ELj1ELb0E6__halfiN10test_utils4lessEEvPT3_PT4_PKjT5_
	.globl	_Z26sort_keys_values_segmentedILj32ELj32ELj1ELb0E6__halfiN10test_utils4lessEEvPT3_PT4_PKjT5_
	.p2align	8
	.type	_Z26sort_keys_values_segmentedILj32ELj32ELj1ELb0E6__halfiN10test_utils4lessEEvPT3_PT4_PKjT5_,@function
_Z26sort_keys_values_segmentedILj32ELj32ELj1ELb0E6__halfiN10test_utils4lessEEvPT3_PT4_PKjT5_: ; @_Z26sort_keys_values_segmentedILj32ELj32ELj1ELb0E6__halfiN10test_utils4lessEEvPT3_PT4_PKjT5_
; %bb.0:
	s_load_dwordx4 s[0:3], s[4:5], 0x0
	s_load_dwordx2 s[8:9], s[4:5], 0x10
	s_mov_b32 s7, 0
	s_lshl_b64 s[4:5], s[6:7], 2
	v_mbcnt_lo_u32_b32 v0, -1, 0
	v_mbcnt_hi_u32_b32 v8, -1, v0
	s_waitcnt lgkmcnt(0)
	s_add_u32 s4, s8, s4
	s_addc_u32 s5, s9, s5
	s_load_dword s8, s[4:5], 0x0
	s_lshl_b32 s6, s6, 5
	s_lshl_b64 s[4:5], s[6:7], 1
	s_add_u32 s0, s0, s4
	v_and_b32_e32 v6, 31, v8
	s_addc_u32 s1, s1, s5
	v_pk_mov_b32 v[0:1], s[0:1], s[0:1] op_sel:[0,1]
	s_waitcnt lgkmcnt(0)
	v_cmp_gt_u32_e32 vcc, s8, v6
	v_lshlrev_b32_e32 v2, 1, v6
                                        ; implicit-def: $vgpr7
	s_and_saveexec_b64 s[4:5], vcc
	s_cbranch_execz .LBB17_2
; %bb.1:
	v_add_co_u32_e64 v4, s[0:1], v0, v2
	v_addc_co_u32_e64 v5, s[0:1], 0, v1, s[0:1]
	global_load_ushort v7, v[4:5], off
.LBB17_2:
	s_or_b64 exec, exec, s[4:5]
	v_lshlrev_b64 v[4:5], 2, s[6:7]
	v_mov_b32_e32 v9, s3
	v_add_co_u32_e64 v3, s[0:1], s2, v4
	v_addc_co_u32_e64 v4, s[0:1], v9, v5, s[0:1]
	v_lshlrev_b32_e32 v5, 2, v6
                                        ; implicit-def: $vgpr9
	s_and_saveexec_b64 s[2:3], vcc
	s_cbranch_execz .LBB17_4
; %bb.3:
	v_add_co_u32_e64 v10, s[0:1], v3, v5
	v_addc_co_u32_e64 v11, s[0:1], 0, v4, s[0:1]
	global_load_dword v9, v[10:11], off
.LBB17_4:
	s_or_b64 exec, exec, s[2:3]
	; wave barrier
	s_waitcnt vmcnt(0)
	ds_write_b16 v2, v7
	v_and_b32_e32 v7, 30, v8
	v_and_b32_e32 v10, 1, v8
	v_min_i32_e32 v7, s8, v7
	v_min_i32_e32 v12, s8, v10
	v_add_u32_e32 v10, 1, v7
	v_min_i32_e32 v10, s8, v10
	v_add_u32_e32 v11, 1, v10
	v_min_i32_e32 v11, s8, v11
	v_sub_u32_e32 v13, v11, v10
	v_sub_u32_e32 v15, v10, v7
	;; [unrolled: 1-line block ×3, first 2 shown]
	v_cmp_ge_i32_e64 s[0:1], v12, v13
	v_cndmask_b32_e64 v13, 0, v16, s[0:1]
	v_min_i32_e32 v15, v12, v15
	v_lshlrev_b32_e32 v14, 1, v7
	v_cmp_lt_i32_e64 s[0:1], v13, v15
	; wave barrier
	s_and_saveexec_b64 s[2:3], s[0:1]
	s_cbranch_execz .LBB17_8
; %bb.5:
	v_lshlrev_b32_e32 v16, 1, v12
	v_lshl_add_u32 v16, v10, 1, v16
	s_mov_b64 s[4:5], 0
.LBB17_6:                               ; =>This Inner Loop Header: Depth=1
	v_sub_u32_e32 v17, v15, v13
	v_lshrrev_b32_e32 v18, 31, v17
	v_add_u32_e32 v17, v17, v18
	v_ashrrev_i32_e32 v17, 1, v17
	v_add_u32_e32 v17, v17, v13
	v_not_b32_e32 v19, v17
	v_lshl_add_u32 v18, v17, 1, v14
	v_lshl_add_u32 v19, v19, 1, v16
	ds_read_u16 v18, v18
	ds_read_u16 v19, v19
	v_add_u32_e32 v20, 1, v17
	s_waitcnt lgkmcnt(0)
	v_cmp_lt_f16_e64 s[0:1], v19, v18
	v_cndmask_b32_e64 v15, v15, v17, s[0:1]
	v_cndmask_b32_e64 v13, v20, v13, s[0:1]
	v_cmp_ge_i32_e64 s[0:1], v13, v15
	s_or_b64 s[4:5], s[0:1], s[4:5]
	s_andn2_b64 exec, exec, s[4:5]
	s_cbranch_execnz .LBB17_6
; %bb.7:
	s_or_b64 exec, exec, s[4:5]
.LBB17_8:
	s_or_b64 exec, exec, s[2:3]
	v_add_u32_e32 v12, v10, v12
	v_sub_u32_e32 v12, v12, v13
	v_lshl_add_u32 v14, v13, 1, v14
	v_lshlrev_b32_e32 v15, 1, v12
	ds_read_u16 v14, v14
	ds_read_u16 v15, v15
	v_add_u32_e32 v7, v13, v7
	v_cmp_le_i32_e64 s[2:3], v10, v7
	v_cmp_gt_i32_e64 s[0:1], v11, v12
	s_waitcnt lgkmcnt(0)
	v_cmp_lt_f16_e64 s[4:5], v15, v14
	s_or_b64 s[2:3], s[2:3], s[4:5]
	s_and_b64 s[0:1], s[0:1], s[2:3]
	v_cndmask_b32_e64 v11, v7, v12, s[0:1]
	v_add_u32_e32 v7, v2, v2
	v_cndmask_b32_e64 v10, v14, v15, s[0:1]
	; wave barrier
	ds_write_b32 v7, v9
	v_lshlrev_b32_e32 v9, 2, v11
	; wave barrier
	ds_read_b32 v9, v9
	; wave barrier
	ds_write_b16 v2, v10
	v_and_b32_e32 v10, 28, v8
	v_and_b32_e32 v11, 3, v8
	v_min_i32_e32 v10, s8, v10
	v_min_i32_e32 v13, s8, v11
	v_add_u32_e32 v11, 2, v10
	v_min_i32_e32 v11, s8, v11
	v_add_u32_e32 v12, 2, v11
	v_min_i32_e32 v12, s8, v12
	v_sub_u32_e32 v14, v12, v11
	v_sub_u32_e32 v16, v11, v10
	;; [unrolled: 1-line block ×3, first 2 shown]
	v_cmp_ge_i32_e64 s[0:1], v13, v14
	v_cndmask_b32_e64 v14, 0, v17, s[0:1]
	v_min_i32_e32 v16, v13, v16
	v_lshlrev_b32_e32 v15, 1, v10
	v_cmp_lt_i32_e64 s[0:1], v14, v16
	; wave barrier
	s_and_saveexec_b64 s[2:3], s[0:1]
	s_cbranch_execz .LBB17_12
; %bb.9:
	v_lshlrev_b32_e32 v17, 1, v13
	v_lshl_add_u32 v17, v11, 1, v17
	s_mov_b64 s[4:5], 0
.LBB17_10:                              ; =>This Inner Loop Header: Depth=1
	v_sub_u32_e32 v18, v16, v14
	v_lshrrev_b32_e32 v19, 31, v18
	v_add_u32_e32 v18, v18, v19
	v_ashrrev_i32_e32 v18, 1, v18
	v_add_u32_e32 v18, v18, v14
	v_not_b32_e32 v20, v18
	v_lshl_add_u32 v19, v18, 1, v15
	v_lshl_add_u32 v20, v20, 1, v17
	ds_read_u16 v19, v19
	ds_read_u16 v20, v20
	v_add_u32_e32 v21, 1, v18
	s_waitcnt lgkmcnt(0)
	v_cmp_lt_f16_e64 s[0:1], v20, v19
	v_cndmask_b32_e64 v16, v16, v18, s[0:1]
	v_cndmask_b32_e64 v14, v21, v14, s[0:1]
	v_cmp_ge_i32_e64 s[0:1], v14, v16
	s_or_b64 s[4:5], s[0:1], s[4:5]
	s_andn2_b64 exec, exec, s[4:5]
	s_cbranch_execnz .LBB17_10
; %bb.11:
	s_or_b64 exec, exec, s[4:5]
.LBB17_12:
	s_or_b64 exec, exec, s[2:3]
	v_add_u32_e32 v13, v11, v13
	v_sub_u32_e32 v13, v13, v14
	v_lshl_add_u32 v15, v14, 1, v15
	v_lshlrev_b32_e32 v16, 1, v13
	ds_read_u16 v15, v15
	ds_read_u16 v16, v16
	v_add_u32_e32 v10, v14, v10
	v_cmp_le_i32_e64 s[2:3], v11, v10
	v_cmp_gt_i32_e64 s[0:1], v12, v13
	s_waitcnt lgkmcnt(0)
	v_cmp_lt_f16_e64 s[4:5], v16, v15
	s_or_b64 s[2:3], s[2:3], s[4:5]
	s_and_b64 s[0:1], s[0:1], s[2:3]
	v_cndmask_b32_e64 v10, v10, v13, s[0:1]
	v_cndmask_b32_e64 v11, v15, v16, s[0:1]
	; wave barrier
	ds_write_b32 v7, v9
	v_lshlrev_b32_e32 v9, 2, v10
	v_and_b32_e32 v10, 24, v8
	; wave barrier
	ds_read_b32 v9, v9
	; wave barrier
	ds_write_b16 v2, v11
	v_and_b32_e32 v11, 7, v8
	v_min_i32_e32 v10, s8, v10
	v_min_i32_e32 v13, s8, v11
	v_add_u32_e32 v11, 4, v10
	v_min_i32_e32 v11, s8, v11
	v_add_u32_e32 v12, 4, v11
	v_min_i32_e32 v12, s8, v12
	v_sub_u32_e32 v14, v12, v11
	v_sub_u32_e32 v16, v11, v10
	;; [unrolled: 1-line block ×3, first 2 shown]
	v_cmp_ge_i32_e64 s[0:1], v13, v14
	v_cndmask_b32_e64 v14, 0, v17, s[0:1]
	v_min_i32_e32 v16, v13, v16
	v_lshlrev_b32_e32 v15, 1, v10
	v_cmp_lt_i32_e64 s[0:1], v14, v16
	; wave barrier
	s_and_saveexec_b64 s[2:3], s[0:1]
	s_cbranch_execz .LBB17_16
; %bb.13:
	v_lshlrev_b32_e32 v17, 1, v13
	v_lshl_add_u32 v17, v11, 1, v17
	s_mov_b64 s[4:5], 0
.LBB17_14:                              ; =>This Inner Loop Header: Depth=1
	v_sub_u32_e32 v18, v16, v14
	v_lshrrev_b32_e32 v19, 31, v18
	v_add_u32_e32 v18, v18, v19
	v_ashrrev_i32_e32 v18, 1, v18
	v_add_u32_e32 v18, v18, v14
	v_not_b32_e32 v20, v18
	v_lshl_add_u32 v19, v18, 1, v15
	v_lshl_add_u32 v20, v20, 1, v17
	ds_read_u16 v19, v19
	ds_read_u16 v20, v20
	v_add_u32_e32 v21, 1, v18
	s_waitcnt lgkmcnt(0)
	v_cmp_lt_f16_e64 s[0:1], v20, v19
	v_cndmask_b32_e64 v16, v16, v18, s[0:1]
	v_cndmask_b32_e64 v14, v21, v14, s[0:1]
	v_cmp_ge_i32_e64 s[0:1], v14, v16
	s_or_b64 s[4:5], s[0:1], s[4:5]
	s_andn2_b64 exec, exec, s[4:5]
	s_cbranch_execnz .LBB17_14
; %bb.15:
	s_or_b64 exec, exec, s[4:5]
.LBB17_16:
	s_or_b64 exec, exec, s[2:3]
	v_add_u32_e32 v13, v11, v13
	v_sub_u32_e32 v13, v13, v14
	v_lshl_add_u32 v15, v14, 1, v15
	v_lshlrev_b32_e32 v16, 1, v13
	ds_read_u16 v15, v15
	ds_read_u16 v16, v16
	v_add_u32_e32 v10, v14, v10
	v_cmp_le_i32_e64 s[2:3], v11, v10
	v_cmp_gt_i32_e64 s[0:1], v12, v13
	s_waitcnt lgkmcnt(0)
	v_cmp_lt_f16_e64 s[4:5], v16, v15
	s_or_b64 s[2:3], s[2:3], s[4:5]
	s_and_b64 s[0:1], s[0:1], s[2:3]
	v_cndmask_b32_e64 v10, v10, v13, s[0:1]
	; wave barrier
	ds_write_b32 v7, v9
	v_lshlrev_b32_e32 v9, 2, v10
	v_and_b32_e32 v10, 16, v8
	v_and_b32_e32 v8, 15, v8
	v_min_i32_e32 v12, s8, v8
	v_min_i32_e32 v8, s8, v10
	v_add_u32_e32 v10, 8, v8
	v_cndmask_b32_e64 v11, v15, v16, s[0:1]
	v_min_i32_e32 v10, s8, v10
	; wave barrier
	ds_read_b32 v9, v9
	; wave barrier
	ds_write_b16 v2, v11
	v_add_u32_e32 v11, 8, v10
	v_min_i32_e32 v11, s8, v11
	v_sub_u32_e32 v13, v11, v10
	v_sub_u32_e32 v15, v10, v8
	;; [unrolled: 1-line block ×3, first 2 shown]
	v_cmp_ge_i32_e64 s[0:1], v12, v13
	v_cndmask_b32_e64 v13, 0, v16, s[0:1]
	v_min_i32_e32 v15, v12, v15
	v_lshlrev_b32_e32 v14, 1, v8
	v_cmp_lt_i32_e64 s[0:1], v13, v15
	; wave barrier
	s_and_saveexec_b64 s[2:3], s[0:1]
	s_cbranch_execz .LBB17_20
; %bb.17:
	v_lshlrev_b32_e32 v16, 1, v12
	v_lshl_add_u32 v16, v10, 1, v16
	s_mov_b64 s[4:5], 0
.LBB17_18:                              ; =>This Inner Loop Header: Depth=1
	v_sub_u32_e32 v17, v15, v13
	v_lshrrev_b32_e32 v18, 31, v17
	v_add_u32_e32 v17, v17, v18
	v_ashrrev_i32_e32 v17, 1, v17
	v_add_u32_e32 v17, v17, v13
	v_not_b32_e32 v19, v17
	v_lshl_add_u32 v18, v17, 1, v14
	v_lshl_add_u32 v19, v19, 1, v16
	ds_read_u16 v18, v18
	ds_read_u16 v19, v19
	v_add_u32_e32 v20, 1, v17
	s_waitcnt lgkmcnt(0)
	v_cmp_lt_f16_e64 s[0:1], v19, v18
	v_cndmask_b32_e64 v15, v15, v17, s[0:1]
	v_cndmask_b32_e64 v13, v20, v13, s[0:1]
	v_cmp_ge_i32_e64 s[0:1], v13, v15
	s_or_b64 s[4:5], s[0:1], s[4:5]
	s_andn2_b64 exec, exec, s[4:5]
	s_cbranch_execnz .LBB17_18
; %bb.19:
	s_or_b64 exec, exec, s[4:5]
.LBB17_20:
	s_or_b64 exec, exec, s[2:3]
	v_add_u32_e32 v12, v10, v12
	v_sub_u32_e32 v12, v12, v13
	v_lshl_add_u32 v14, v13, 1, v14
	v_lshlrev_b32_e32 v15, 1, v12
	ds_read_u16 v14, v14
	ds_read_u16 v15, v15
	v_add_u32_e32 v8, v13, v8
	v_cmp_le_i32_e64 s[2:3], v10, v8
	v_cmp_gt_i32_e64 s[0:1], v11, v12
	s_waitcnt lgkmcnt(0)
	v_cmp_lt_f16_e64 s[4:5], v15, v14
	s_or_b64 s[2:3], s[2:3], s[4:5]
	s_and_b64 s[0:1], s[0:1], s[2:3]
	v_cndmask_b32_e64 v8, v8, v12, s[0:1]
	v_lshlrev_b32_e32 v8, 2, v8
	v_min_i32_e32 v12, s8, v6
	v_min_i32_e64 v6, s8, 0
	; wave barrier
	ds_write_b32 v7, v9
	; wave barrier
	ds_read_b32 v9, v8
	v_add_u32_e32 v8, 16, v6
	v_cndmask_b32_e64 v10, v14, v15, s[0:1]
	v_min_i32_e32 v8, s8, v8
	; wave barrier
	ds_write_b16 v2, v10
	v_add_u32_e32 v10, 16, v8
	v_min_i32_e32 v10, s8, v10
	v_sub_u32_e32 v11, v10, v8
	v_sub_u32_e32 v14, v8, v6
	v_sub_u32_e32 v15, v12, v11
	v_cmp_ge_i32_e64 s[0:1], v12, v11
	v_cndmask_b32_e64 v11, 0, v15, s[0:1]
	v_min_i32_e32 v14, v12, v14
	v_lshlrev_b32_e32 v13, 1, v6
	v_cmp_lt_i32_e64 s[0:1], v11, v14
	; wave barrier
	s_and_saveexec_b64 s[2:3], s[0:1]
	s_cbranch_execz .LBB17_24
; %bb.21:
	v_lshlrev_b32_e32 v15, 1, v12
	v_lshl_add_u32 v15, v8, 1, v15
	s_mov_b64 s[4:5], 0
.LBB17_22:                              ; =>This Inner Loop Header: Depth=1
	v_sub_u32_e32 v16, v14, v11
	v_lshrrev_b32_e32 v17, 31, v16
	v_add_u32_e32 v16, v16, v17
	v_ashrrev_i32_e32 v16, 1, v16
	v_add_u32_e32 v16, v16, v11
	v_not_b32_e32 v18, v16
	v_lshl_add_u32 v17, v16, 1, v13
	v_lshl_add_u32 v18, v18, 1, v15
	ds_read_u16 v17, v17
	ds_read_u16 v18, v18
	v_add_u32_e32 v19, 1, v16
	s_waitcnt lgkmcnt(0)
	v_cmp_lt_f16_e64 s[0:1], v18, v17
	v_cndmask_b32_e64 v14, v14, v16, s[0:1]
	v_cndmask_b32_e64 v11, v19, v11, s[0:1]
	v_cmp_ge_i32_e64 s[0:1], v11, v14
	s_or_b64 s[4:5], s[0:1], s[4:5]
	s_andn2_b64 exec, exec, s[4:5]
	s_cbranch_execnz .LBB17_22
; %bb.23:
	s_or_b64 exec, exec, s[4:5]
.LBB17_24:
	s_or_b64 exec, exec, s[2:3]
	v_add_u32_e32 v12, v8, v12
	v_sub_u32_e32 v14, v12, v11
	v_lshl_add_u32 v12, v11, 1, v13
	v_lshlrev_b32_e32 v13, 1, v14
	ds_read_u16 v12, v12
	ds_read_u16 v13, v13
	; wave barrier
	s_waitcnt lgkmcnt(3)
	ds_write_b32 v7, v9
	; wave barrier
	s_and_saveexec_b64 s[0:1], vcc
	s_cbranch_execz .LBB17_26
; %bb.25:
	v_add_u32_e32 v6, v11, v6
	v_cmp_le_i32_e64 s[0:1], v8, v6
	s_waitcnt lgkmcnt(1)
	v_cmp_lt_f16_e64 s[2:3], v13, v12
	v_cmp_gt_i32_e32 vcc, v10, v14
	s_or_b64 s[0:1], s[0:1], s[2:3]
	s_and_b64 vcc, vcc, s[0:1]
	v_cndmask_b32_e32 v6, v6, v14, vcc
	v_lshlrev_b32_e32 v6, 2, v6
	ds_read_b32 v6, v6
	v_add_co_u32_e64 v0, s[0:1], v0, v2
	v_addc_co_u32_e64 v1, s[0:1], 0, v1, s[0:1]
	v_cndmask_b32_e32 v2, v12, v13, vcc
	global_store_short v[0:1], v2, off
	v_add_co_u32_e32 v0, vcc, v3, v5
	v_addc_co_u32_e32 v1, vcc, 0, v4, vcc
	s_waitcnt lgkmcnt(0)
	global_store_dword v[0:1], v6, off
.LBB17_26:
	s_endpgm
	.section	.rodata,"a",@progbits
	.p2align	6, 0x0
	.amdhsa_kernel _Z26sort_keys_values_segmentedILj32ELj32ELj1ELb0E6__halfiN10test_utils4lessEEvPT3_PT4_PKjT5_
		.amdhsa_group_segment_fixed_size 132
		.amdhsa_private_segment_fixed_size 0
		.amdhsa_kernarg_size 28
		.amdhsa_user_sgpr_count 6
		.amdhsa_user_sgpr_private_segment_buffer 1
		.amdhsa_user_sgpr_dispatch_ptr 0
		.amdhsa_user_sgpr_queue_ptr 0
		.amdhsa_user_sgpr_kernarg_segment_ptr 1
		.amdhsa_user_sgpr_dispatch_id 0
		.amdhsa_user_sgpr_flat_scratch_init 0
		.amdhsa_user_sgpr_kernarg_preload_length 0
		.amdhsa_user_sgpr_kernarg_preload_offset 0
		.amdhsa_user_sgpr_private_segment_size 0
		.amdhsa_uses_dynamic_stack 0
		.amdhsa_system_sgpr_private_segment_wavefront_offset 0
		.amdhsa_system_sgpr_workgroup_id_x 1
		.amdhsa_system_sgpr_workgroup_id_y 0
		.amdhsa_system_sgpr_workgroup_id_z 0
		.amdhsa_system_sgpr_workgroup_info 0
		.amdhsa_system_vgpr_workitem_id 0
		.amdhsa_next_free_vgpr 22
		.amdhsa_next_free_sgpr 10
		.amdhsa_accum_offset 24
		.amdhsa_reserve_vcc 1
		.amdhsa_reserve_flat_scratch 0
		.amdhsa_float_round_mode_32 0
		.amdhsa_float_round_mode_16_64 0
		.amdhsa_float_denorm_mode_32 3
		.amdhsa_float_denorm_mode_16_64 3
		.amdhsa_dx10_clamp 1
		.amdhsa_ieee_mode 1
		.amdhsa_fp16_overflow 0
		.amdhsa_tg_split 0
		.amdhsa_exception_fp_ieee_invalid_op 0
		.amdhsa_exception_fp_denorm_src 0
		.amdhsa_exception_fp_ieee_div_zero 0
		.amdhsa_exception_fp_ieee_overflow 0
		.amdhsa_exception_fp_ieee_underflow 0
		.amdhsa_exception_fp_ieee_inexact 0
		.amdhsa_exception_int_div_zero 0
	.end_amdhsa_kernel
	.section	.text._Z26sort_keys_values_segmentedILj32ELj32ELj1ELb0E6__halfiN10test_utils4lessEEvPT3_PT4_PKjT5_,"axG",@progbits,_Z26sort_keys_values_segmentedILj32ELj32ELj1ELb0E6__halfiN10test_utils4lessEEvPT3_PT4_PKjT5_,comdat
.Lfunc_end17:
	.size	_Z26sort_keys_values_segmentedILj32ELj32ELj1ELb0E6__halfiN10test_utils4lessEEvPT3_PT4_PKjT5_, .Lfunc_end17-_Z26sort_keys_values_segmentedILj32ELj32ELj1ELb0E6__halfiN10test_utils4lessEEvPT3_PT4_PKjT5_
                                        ; -- End function
	.section	.AMDGPU.csdata,"",@progbits
; Kernel info:
; codeLenInByte = 1936
; NumSgprs: 14
; NumVgprs: 22
; NumAgprs: 0
; TotalNumVgprs: 22
; ScratchSize: 0
; MemoryBound: 0
; FloatMode: 240
; IeeeMode: 1
; LDSByteSize: 132 bytes/workgroup (compile time only)
; SGPRBlocks: 1
; VGPRBlocks: 2
; NumSGPRsForWavesPerEU: 14
; NumVGPRsForWavesPerEU: 22
; AccumOffset: 24
; Occupancy: 8
; WaveLimiterHint : 0
; COMPUTE_PGM_RSRC2:SCRATCH_EN: 0
; COMPUTE_PGM_RSRC2:USER_SGPR: 6
; COMPUTE_PGM_RSRC2:TRAP_HANDLER: 0
; COMPUTE_PGM_RSRC2:TGID_X_EN: 1
; COMPUTE_PGM_RSRC2:TGID_Y_EN: 0
; COMPUTE_PGM_RSRC2:TGID_Z_EN: 0
; COMPUTE_PGM_RSRC2:TIDIG_COMP_CNT: 0
; COMPUTE_PGM_RSRC3_GFX90A:ACCUM_OFFSET: 5
; COMPUTE_PGM_RSRC3_GFX90A:TG_SPLIT: 0
	.section	.text._Z26sort_keys_values_segmentedILj512ELj64ELj1ELb0EsiN10test_utils4lessEEvPT3_PT4_PKjT5_,"axG",@progbits,_Z26sort_keys_values_segmentedILj512ELj64ELj1ELb0EsiN10test_utils4lessEEvPT3_PT4_PKjT5_,comdat
	.protected	_Z26sort_keys_values_segmentedILj512ELj64ELj1ELb0EsiN10test_utils4lessEEvPT3_PT4_PKjT5_ ; -- Begin function _Z26sort_keys_values_segmentedILj512ELj64ELj1ELb0EsiN10test_utils4lessEEvPT3_PT4_PKjT5_
	.globl	_Z26sort_keys_values_segmentedILj512ELj64ELj1ELb0EsiN10test_utils4lessEEvPT3_PT4_PKjT5_
	.p2align	8
	.type	_Z26sort_keys_values_segmentedILj512ELj64ELj1ELb0EsiN10test_utils4lessEEvPT3_PT4_PKjT5_,@function
_Z26sort_keys_values_segmentedILj512ELj64ELj1ELb0EsiN10test_utils4lessEEvPT3_PT4_PKjT5_: ; @_Z26sort_keys_values_segmentedILj512ELj64ELj1ELb0EsiN10test_utils4lessEEvPT3_PT4_PKjT5_
; %bb.0:
	s_load_dwordx2 s[0:1], s[4:5], 0x10
	v_lshrrev_b32_e32 v10, 6, v0
	v_lshl_or_b32 v0, s6, 3, v10
	v_mov_b32_e32 v1, 0
	v_lshlrev_b64 v[2:3], 2, v[0:1]
	s_waitcnt lgkmcnt(0)
	v_mov_b32_e32 v4, s1
	v_add_co_u32_e32 v2, vcc, s0, v2
	v_addc_co_u32_e32 v3, vcc, v4, v3, vcc
	global_load_dword v7, v[2:3], off
	s_load_dwordx4 s[0:3], s[4:5], 0x0
	v_mbcnt_lo_u32_b32 v2, -1, 0
	v_lshlrev_b32_e32 v0, 6, v0
	v_mbcnt_hi_u32_b32 v8, -1, v2
	v_lshlrev_b64 v[2:3], 1, v[0:1]
	s_waitcnt lgkmcnt(0)
	v_mov_b32_e32 v4, s1
	v_add_co_u32_e32 v2, vcc, s0, v2
	v_addc_co_u32_e32 v3, vcc, v4, v3, vcc
	v_lshlrev_b32_e32 v4, 1, v8
                                        ; implicit-def: $vgpr12
	s_waitcnt vmcnt(0)
	v_cmp_lt_u32_e32 vcc, v8, v7
	s_and_saveexec_b64 s[4:5], vcc
	s_cbranch_execz .LBB18_2
; %bb.1:
	v_add_co_u32_e64 v12, s[0:1], v2, v4
	v_addc_co_u32_e64 v13, s[0:1], 0, v3, s[0:1]
	global_load_ushort v12, v[12:13], off
.LBB18_2:
	s_or_b64 exec, exec, s[4:5]
	v_lshlrev_b64 v[0:1], 2, v[0:1]
	v_mov_b32_e32 v5, s3
	v_add_co_u32_e64 v0, s[0:1], s2, v0
	v_addc_co_u32_e64 v1, s[0:1], v5, v1, s[0:1]
	v_lshlrev_b32_e32 v5, 2, v8
                                        ; implicit-def: $vgpr11
	s_and_saveexec_b64 s[2:3], vcc
	s_cbranch_execz .LBB18_4
; %bb.3:
	v_add_co_u32_e64 v14, s[0:1], v0, v5
	v_addc_co_u32_e64 v15, s[0:1], 0, v1, s[0:1]
	global_load_dword v11, v[14:15], off
.LBB18_4:
	s_or_b64 exec, exec, s[2:3]
	s_movk_i32 s0, 0x104
	v_mad_u32_u24 v9, v10, s0, v4
	; wave barrier
	s_waitcnt vmcnt(0)
	ds_write_b16 v9, v12
	v_and_b32_e32 v12, 0x7e, v8
	v_and_b32_e32 v13, 1, v8
	v_min_i32_e32 v12, v7, v12
	v_min_i32_e32 v15, v7, v13
	v_add_u32_e32 v13, 1, v12
	v_min_i32_e32 v13, v7, v13
	v_add_u32_e32 v14, 1, v13
	v_min_i32_e32 v14, v7, v14
	v_sub_u32_e32 v18, v14, v13
	v_lshlrev_b32_e32 v16, 1, v12
	v_mul_u32_u24_e32 v6, 0x104, v10
	v_sub_u32_e32 v17, v13, v12
	v_mad_u32_u24 v16, v10, s0, v16
	v_sub_u32_e32 v10, v15, v18
	v_cmp_ge_i32_e64 s[0:1], v15, v18
	v_cndmask_b32_e64 v10, 0, v10, s[0:1]
	v_min_i32_e32 v17, v15, v17
	v_cmp_lt_i32_e64 s[0:1], v10, v17
	; wave barrier
	s_and_saveexec_b64 s[2:3], s[0:1]
	s_cbranch_execz .LBB18_8
; %bb.5:
	v_lshlrev_b32_e32 v18, 1, v13
	v_lshlrev_b32_e32 v19, 1, v15
	v_add3_u32 v18, v6, v18, v19
	s_mov_b64 s[4:5], 0
.LBB18_6:                               ; =>This Inner Loop Header: Depth=1
	v_sub_u32_e32 v19, v17, v10
	v_lshrrev_b32_e32 v20, 31, v19
	v_add_u32_e32 v19, v19, v20
	v_ashrrev_i32_e32 v19, 1, v19
	v_add_u32_e32 v19, v19, v10
	v_not_b32_e32 v21, v19
	v_lshl_add_u32 v20, v19, 1, v16
	v_lshl_add_u32 v21, v21, 1, v18
	ds_read_u16 v20, v20
	ds_read_u16 v21, v21
	v_add_u32_e32 v22, 1, v19
	s_waitcnt lgkmcnt(0)
	v_cmp_lt_i16_e64 s[0:1], v21, v20
	v_cndmask_b32_e64 v17, v17, v19, s[0:1]
	v_cndmask_b32_e64 v10, v22, v10, s[0:1]
	v_cmp_ge_i32_e64 s[0:1], v10, v17
	s_or_b64 s[4:5], s[0:1], s[4:5]
	s_andn2_b64 exec, exec, s[4:5]
	s_cbranch_execnz .LBB18_6
; %bb.7:
	s_or_b64 exec, exec, s[4:5]
.LBB18_8:
	s_or_b64 exec, exec, s[2:3]
	v_add_u32_e32 v15, v13, v15
	v_sub_u32_e32 v15, v15, v10
	v_lshl_add_u32 v16, v10, 1, v16
	v_lshl_add_u32 v17, v15, 1, v6
	ds_read_u16 v16, v16
	ds_read_u16 v17, v17
	v_add_u32_e32 v10, v10, v12
	v_cmp_le_i32_e64 s[2:3], v13, v10
	v_cmp_gt_i32_e64 s[0:1], v14, v15
	s_waitcnt lgkmcnt(0)
	v_cmp_lt_i16_e64 s[4:5], v17, v16
	s_or_b64 s[2:3], s[2:3], s[4:5]
	s_and_b64 s[0:1], s[0:1], s[2:3]
	v_cndmask_b32_e64 v13, v10, v15, s[0:1]
	v_add_u32_e32 v10, v9, v4
	v_cndmask_b32_e64 v12, v16, v17, s[0:1]
	; wave barrier
	ds_write_b32 v10, v11
	v_lshl_add_u32 v11, v13, 2, v6
	; wave barrier
	ds_read_b32 v11, v11
	; wave barrier
	ds_write_b16 v9, v12
	v_and_b32_e32 v12, 0x7c, v8
	v_and_b32_e32 v13, 3, v8
	v_min_i32_e32 v12, v7, v12
	v_min_i32_e32 v15, v7, v13
	v_add_u32_e32 v13, 2, v12
	v_min_i32_e32 v13, v7, v13
	v_add_u32_e32 v14, 2, v13
	v_min_i32_e32 v14, v7, v14
	v_sub_u32_e32 v16, v14, v13
	v_sub_u32_e32 v18, v13, v12
	;; [unrolled: 1-line block ×3, first 2 shown]
	v_cmp_ge_i32_e64 s[0:1], v15, v16
	v_cndmask_b32_e64 v16, 0, v19, s[0:1]
	v_min_i32_e32 v18, v15, v18
	v_lshl_add_u32 v17, v12, 1, v6
	v_cmp_lt_i32_e64 s[0:1], v16, v18
	; wave barrier
	s_and_saveexec_b64 s[2:3], s[0:1]
	s_cbranch_execz .LBB18_12
; %bb.9:
	v_lshlrev_b32_e32 v19, 1, v13
	v_lshlrev_b32_e32 v20, 1, v15
	v_add3_u32 v19, v6, v19, v20
	s_mov_b64 s[4:5], 0
.LBB18_10:                              ; =>This Inner Loop Header: Depth=1
	v_sub_u32_e32 v20, v18, v16
	v_lshrrev_b32_e32 v21, 31, v20
	v_add_u32_e32 v20, v20, v21
	v_ashrrev_i32_e32 v20, 1, v20
	v_add_u32_e32 v20, v20, v16
	v_not_b32_e32 v22, v20
	v_lshl_add_u32 v21, v20, 1, v17
	v_lshl_add_u32 v22, v22, 1, v19
	ds_read_u16 v21, v21
	ds_read_u16 v22, v22
	v_add_u32_e32 v23, 1, v20
	s_waitcnt lgkmcnt(0)
	v_cmp_lt_i16_e64 s[0:1], v22, v21
	v_cndmask_b32_e64 v18, v18, v20, s[0:1]
	v_cndmask_b32_e64 v16, v23, v16, s[0:1]
	v_cmp_ge_i32_e64 s[0:1], v16, v18
	s_or_b64 s[4:5], s[0:1], s[4:5]
	s_andn2_b64 exec, exec, s[4:5]
	s_cbranch_execnz .LBB18_10
; %bb.11:
	s_or_b64 exec, exec, s[4:5]
.LBB18_12:
	s_or_b64 exec, exec, s[2:3]
	v_add_u32_e32 v15, v13, v15
	v_sub_u32_e32 v15, v15, v16
	v_lshl_add_u32 v17, v16, 1, v17
	v_lshl_add_u32 v18, v15, 1, v6
	ds_read_u16 v17, v17
	ds_read_u16 v18, v18
	v_add_u32_e32 v12, v16, v12
	v_cmp_le_i32_e64 s[2:3], v13, v12
	v_cmp_gt_i32_e64 s[0:1], v14, v15
	s_waitcnt lgkmcnt(0)
	v_cmp_lt_i16_e64 s[4:5], v18, v17
	s_or_b64 s[2:3], s[2:3], s[4:5]
	s_and_b64 s[0:1], s[0:1], s[2:3]
	v_cndmask_b32_e64 v12, v12, v15, s[0:1]
	v_cndmask_b32_e64 v13, v17, v18, s[0:1]
	; wave barrier
	ds_write_b32 v10, v11
	v_lshl_add_u32 v11, v12, 2, v6
	v_and_b32_e32 v12, 0x78, v8
	; wave barrier
	ds_read_b32 v11, v11
	; wave barrier
	ds_write_b16 v9, v13
	v_and_b32_e32 v13, 7, v8
	v_min_i32_e32 v12, v7, v12
	v_min_i32_e32 v15, v7, v13
	v_add_u32_e32 v13, 4, v12
	v_min_i32_e32 v13, v7, v13
	v_add_u32_e32 v14, 4, v13
	v_min_i32_e32 v14, v7, v14
	v_sub_u32_e32 v16, v14, v13
	v_sub_u32_e32 v18, v13, v12
	;; [unrolled: 1-line block ×3, first 2 shown]
	v_cmp_ge_i32_e64 s[0:1], v15, v16
	v_cndmask_b32_e64 v16, 0, v19, s[0:1]
	v_min_i32_e32 v18, v15, v18
	v_lshl_add_u32 v17, v12, 1, v6
	v_cmp_lt_i32_e64 s[0:1], v16, v18
	; wave barrier
	s_and_saveexec_b64 s[2:3], s[0:1]
	s_cbranch_execz .LBB18_16
; %bb.13:
	v_lshlrev_b32_e32 v19, 1, v13
	v_lshlrev_b32_e32 v20, 1, v15
	v_add3_u32 v19, v6, v19, v20
	s_mov_b64 s[4:5], 0
.LBB18_14:                              ; =>This Inner Loop Header: Depth=1
	v_sub_u32_e32 v20, v18, v16
	v_lshrrev_b32_e32 v21, 31, v20
	v_add_u32_e32 v20, v20, v21
	v_ashrrev_i32_e32 v20, 1, v20
	v_add_u32_e32 v20, v20, v16
	v_not_b32_e32 v22, v20
	v_lshl_add_u32 v21, v20, 1, v17
	v_lshl_add_u32 v22, v22, 1, v19
	ds_read_u16 v21, v21
	ds_read_u16 v22, v22
	v_add_u32_e32 v23, 1, v20
	s_waitcnt lgkmcnt(0)
	v_cmp_lt_i16_e64 s[0:1], v22, v21
	v_cndmask_b32_e64 v18, v18, v20, s[0:1]
	v_cndmask_b32_e64 v16, v23, v16, s[0:1]
	v_cmp_ge_i32_e64 s[0:1], v16, v18
	s_or_b64 s[4:5], s[0:1], s[4:5]
	s_andn2_b64 exec, exec, s[4:5]
	s_cbranch_execnz .LBB18_14
; %bb.15:
	s_or_b64 exec, exec, s[4:5]
.LBB18_16:
	s_or_b64 exec, exec, s[2:3]
	v_add_u32_e32 v15, v13, v15
	v_sub_u32_e32 v15, v15, v16
	v_lshl_add_u32 v17, v16, 1, v17
	v_lshl_add_u32 v18, v15, 1, v6
	ds_read_u16 v17, v17
	ds_read_u16 v18, v18
	v_add_u32_e32 v12, v16, v12
	v_cmp_le_i32_e64 s[2:3], v13, v12
	v_cmp_gt_i32_e64 s[0:1], v14, v15
	s_waitcnt lgkmcnt(0)
	v_cmp_lt_i16_e64 s[4:5], v18, v17
	s_or_b64 s[2:3], s[2:3], s[4:5]
	s_and_b64 s[0:1], s[0:1], s[2:3]
	v_cndmask_b32_e64 v12, v12, v15, s[0:1]
	v_cndmask_b32_e64 v13, v17, v18, s[0:1]
	; wave barrier
	ds_write_b32 v10, v11
	v_lshl_add_u32 v11, v12, 2, v6
	v_and_b32_e32 v12, 0x70, v8
	; wave barrier
	ds_read_b32 v11, v11
	; wave barrier
	ds_write_b16 v9, v13
	v_and_b32_e32 v13, 15, v8
	v_min_i32_e32 v12, v7, v12
	v_min_i32_e32 v15, v7, v13
	v_add_u32_e32 v13, 8, v12
	v_min_i32_e32 v13, v7, v13
	v_add_u32_e32 v14, 8, v13
	v_min_i32_e32 v14, v7, v14
	v_sub_u32_e32 v16, v14, v13
	v_sub_u32_e32 v18, v13, v12
	;; [unrolled: 1-line block ×3, first 2 shown]
	v_cmp_ge_i32_e64 s[0:1], v15, v16
	v_cndmask_b32_e64 v16, 0, v19, s[0:1]
	v_min_i32_e32 v18, v15, v18
	v_lshl_add_u32 v17, v12, 1, v6
	v_cmp_lt_i32_e64 s[0:1], v16, v18
	; wave barrier
	s_and_saveexec_b64 s[2:3], s[0:1]
	s_cbranch_execz .LBB18_20
; %bb.17:
	v_lshlrev_b32_e32 v19, 1, v13
	v_lshlrev_b32_e32 v20, 1, v15
	v_add3_u32 v19, v6, v19, v20
	s_mov_b64 s[4:5], 0
.LBB18_18:                              ; =>This Inner Loop Header: Depth=1
	v_sub_u32_e32 v20, v18, v16
	v_lshrrev_b32_e32 v21, 31, v20
	v_add_u32_e32 v20, v20, v21
	v_ashrrev_i32_e32 v20, 1, v20
	v_add_u32_e32 v20, v20, v16
	v_not_b32_e32 v22, v20
	v_lshl_add_u32 v21, v20, 1, v17
	v_lshl_add_u32 v22, v22, 1, v19
	ds_read_u16 v21, v21
	ds_read_u16 v22, v22
	v_add_u32_e32 v23, 1, v20
	s_waitcnt lgkmcnt(0)
	v_cmp_lt_i16_e64 s[0:1], v22, v21
	v_cndmask_b32_e64 v18, v18, v20, s[0:1]
	v_cndmask_b32_e64 v16, v23, v16, s[0:1]
	v_cmp_ge_i32_e64 s[0:1], v16, v18
	s_or_b64 s[4:5], s[0:1], s[4:5]
	s_andn2_b64 exec, exec, s[4:5]
	s_cbranch_execnz .LBB18_18
; %bb.19:
	s_or_b64 exec, exec, s[4:5]
.LBB18_20:
	s_or_b64 exec, exec, s[2:3]
	v_add_u32_e32 v15, v13, v15
	v_sub_u32_e32 v15, v15, v16
	v_lshl_add_u32 v17, v16, 1, v17
	v_lshl_add_u32 v18, v15, 1, v6
	ds_read_u16 v17, v17
	ds_read_u16 v18, v18
	v_add_u32_e32 v12, v16, v12
	v_cmp_le_i32_e64 s[2:3], v13, v12
	v_cmp_gt_i32_e64 s[0:1], v14, v15
	s_waitcnt lgkmcnt(0)
	v_cmp_lt_i16_e64 s[4:5], v18, v17
	s_or_b64 s[2:3], s[2:3], s[4:5]
	s_and_b64 s[0:1], s[0:1], s[2:3]
	v_cndmask_b32_e64 v12, v12, v15, s[0:1]
	v_cndmask_b32_e64 v13, v17, v18, s[0:1]
	; wave barrier
	ds_write_b32 v10, v11
	v_lshl_add_u32 v11, v12, 2, v6
	v_and_b32_e32 v12, 0x60, v8
	; wave barrier
	ds_read_b32 v11, v11
	; wave barrier
	ds_write_b16 v9, v13
	v_and_b32_e32 v13, 31, v8
	v_min_i32_e32 v12, v7, v12
	v_min_i32_e32 v15, v7, v13
	v_add_u32_e32 v13, 16, v12
	v_min_i32_e32 v13, v7, v13
	v_add_u32_e32 v14, 16, v13
	v_min_i32_e32 v14, v7, v14
	v_sub_u32_e32 v16, v14, v13
	v_sub_u32_e32 v18, v13, v12
	;; [unrolled: 1-line block ×3, first 2 shown]
	v_cmp_ge_i32_e64 s[0:1], v15, v16
	v_cndmask_b32_e64 v16, 0, v19, s[0:1]
	v_min_i32_e32 v18, v15, v18
	v_lshl_add_u32 v17, v12, 1, v6
	v_cmp_lt_i32_e64 s[0:1], v16, v18
	; wave barrier
	s_and_saveexec_b64 s[2:3], s[0:1]
	s_cbranch_execz .LBB18_24
; %bb.21:
	v_lshlrev_b32_e32 v19, 1, v13
	v_lshlrev_b32_e32 v20, 1, v15
	v_add3_u32 v19, v6, v19, v20
	s_mov_b64 s[4:5], 0
.LBB18_22:                              ; =>This Inner Loop Header: Depth=1
	v_sub_u32_e32 v20, v18, v16
	v_lshrrev_b32_e32 v21, 31, v20
	v_add_u32_e32 v20, v20, v21
	v_ashrrev_i32_e32 v20, 1, v20
	v_add_u32_e32 v20, v20, v16
	v_not_b32_e32 v22, v20
	v_lshl_add_u32 v21, v20, 1, v17
	v_lshl_add_u32 v22, v22, 1, v19
	ds_read_u16 v21, v21
	ds_read_u16 v22, v22
	v_add_u32_e32 v23, 1, v20
	s_waitcnt lgkmcnt(0)
	v_cmp_lt_i16_e64 s[0:1], v22, v21
	v_cndmask_b32_e64 v18, v18, v20, s[0:1]
	v_cndmask_b32_e64 v16, v23, v16, s[0:1]
	v_cmp_ge_i32_e64 s[0:1], v16, v18
	s_or_b64 s[4:5], s[0:1], s[4:5]
	s_andn2_b64 exec, exec, s[4:5]
	s_cbranch_execnz .LBB18_22
; %bb.23:
	s_or_b64 exec, exec, s[4:5]
.LBB18_24:
	s_or_b64 exec, exec, s[2:3]
	v_add_u32_e32 v15, v13, v15
	v_sub_u32_e32 v15, v15, v16
	v_lshl_add_u32 v17, v16, 1, v17
	v_lshl_add_u32 v18, v15, 1, v6
	ds_read_u16 v17, v17
	ds_read_u16 v18, v18
	v_add_u32_e32 v12, v16, v12
	v_cmp_le_i32_e64 s[2:3], v13, v12
	v_cmp_gt_i32_e64 s[0:1], v14, v15
	s_waitcnt lgkmcnt(0)
	v_cmp_lt_i16_e64 s[4:5], v18, v17
	s_or_b64 s[2:3], s[2:3], s[4:5]
	s_and_b64 s[0:1], s[0:1], s[2:3]
	v_cndmask_b32_e64 v12, v12, v15, s[0:1]
	v_cndmask_b32_e64 v13, v17, v18, s[0:1]
	; wave barrier
	ds_write_b32 v10, v11
	v_lshl_add_u32 v11, v12, 2, v6
	; wave barrier
	ds_read_b32 v11, v11
	; wave barrier
	ds_write_b16 v9, v13
	v_and_b32_e32 v9, 64, v8
	v_and_b32_e32 v8, 63, v8
	v_min_i32_e32 v13, v7, v8
	v_min_i32_e32 v8, v7, v9
	v_add_u32_e32 v9, 32, v8
	v_min_i32_e32 v9, v7, v9
	v_add_u32_e32 v12, 32, v9
	v_min_i32_e32 v7, v7, v12
	v_sub_u32_e32 v12, v7, v9
	v_sub_u32_e32 v15, v9, v8
	;; [unrolled: 1-line block ×3, first 2 shown]
	v_cmp_ge_i32_e64 s[0:1], v13, v12
	v_cndmask_b32_e64 v12, 0, v16, s[0:1]
	v_min_i32_e32 v15, v13, v15
	v_lshl_add_u32 v14, v8, 1, v6
	v_cmp_lt_i32_e64 s[0:1], v12, v15
	; wave barrier
	s_and_saveexec_b64 s[2:3], s[0:1]
	s_cbranch_execz .LBB18_28
; %bb.25:
	v_lshlrev_b32_e32 v16, 1, v9
	v_lshlrev_b32_e32 v17, 1, v13
	v_add3_u32 v16, v6, v16, v17
	s_mov_b64 s[4:5], 0
.LBB18_26:                              ; =>This Inner Loop Header: Depth=1
	v_sub_u32_e32 v17, v15, v12
	v_lshrrev_b32_e32 v18, 31, v17
	v_add_u32_e32 v17, v17, v18
	v_ashrrev_i32_e32 v17, 1, v17
	v_add_u32_e32 v17, v17, v12
	v_not_b32_e32 v19, v17
	v_lshl_add_u32 v18, v17, 1, v14
	v_lshl_add_u32 v19, v19, 1, v16
	ds_read_u16 v18, v18
	ds_read_u16 v19, v19
	v_add_u32_e32 v20, 1, v17
	s_waitcnt lgkmcnt(0)
	v_cmp_lt_i16_e64 s[0:1], v19, v18
	v_cndmask_b32_e64 v15, v15, v17, s[0:1]
	v_cndmask_b32_e64 v12, v20, v12, s[0:1]
	v_cmp_ge_i32_e64 s[0:1], v12, v15
	s_or_b64 s[4:5], s[0:1], s[4:5]
	s_andn2_b64 exec, exec, s[4:5]
	s_cbranch_execnz .LBB18_26
; %bb.27:
	s_or_b64 exec, exec, s[4:5]
.LBB18_28:
	s_or_b64 exec, exec, s[2:3]
	v_add_u32_e32 v13, v9, v13
	v_sub_u32_e32 v15, v13, v12
	v_lshl_add_u32 v13, v12, 1, v14
	v_lshl_add_u32 v14, v15, 1, v6
	ds_read_u16 v13, v13
	ds_read_u16 v14, v14
	; wave barrier
	s_waitcnt lgkmcnt(3)
	ds_write_b32 v10, v11
	; wave barrier
	s_and_saveexec_b64 s[0:1], vcc
	s_cbranch_execz .LBB18_30
; %bb.29:
	v_add_u32_e32 v8, v12, v8
	v_cmp_le_i32_e64 s[0:1], v9, v8
	s_waitcnt lgkmcnt(1)
	v_cmp_lt_i16_e64 s[2:3], v14, v13
	v_cmp_gt_i32_e32 vcc, v7, v15
	s_or_b64 s[0:1], s[0:1], s[2:3]
	s_and_b64 vcc, vcc, s[0:1]
	v_cndmask_b32_e32 v7, v8, v15, vcc
	v_lshl_add_u32 v6, v7, 2, v6
	ds_read_b32 v6, v6
	v_add_co_u32_e64 v2, s[0:1], v2, v4
	v_cndmask_b32_e32 v4, v13, v14, vcc
	v_add_co_u32_e32 v0, vcc, v0, v5
	v_addc_co_u32_e64 v3, s[0:1], 0, v3, s[0:1]
	v_addc_co_u32_e32 v1, vcc, 0, v1, vcc
	global_store_short v[2:3], v4, off
	s_waitcnt lgkmcnt(0)
	global_store_dword v[0:1], v6, off
.LBB18_30:
	s_endpgm
	.section	.rodata,"a",@progbits
	.p2align	6, 0x0
	.amdhsa_kernel _Z26sort_keys_values_segmentedILj512ELj64ELj1ELb0EsiN10test_utils4lessEEvPT3_PT4_PKjT5_
		.amdhsa_group_segment_fixed_size 2080
		.amdhsa_private_segment_fixed_size 0
		.amdhsa_kernarg_size 28
		.amdhsa_user_sgpr_count 6
		.amdhsa_user_sgpr_private_segment_buffer 1
		.amdhsa_user_sgpr_dispatch_ptr 0
		.amdhsa_user_sgpr_queue_ptr 0
		.amdhsa_user_sgpr_kernarg_segment_ptr 1
		.amdhsa_user_sgpr_dispatch_id 0
		.amdhsa_user_sgpr_flat_scratch_init 0
		.amdhsa_user_sgpr_kernarg_preload_length 0
		.amdhsa_user_sgpr_kernarg_preload_offset 0
		.amdhsa_user_sgpr_private_segment_size 0
		.amdhsa_uses_dynamic_stack 0
		.amdhsa_system_sgpr_private_segment_wavefront_offset 0
		.amdhsa_system_sgpr_workgroup_id_x 1
		.amdhsa_system_sgpr_workgroup_id_y 0
		.amdhsa_system_sgpr_workgroup_id_z 0
		.amdhsa_system_sgpr_workgroup_info 0
		.amdhsa_system_vgpr_workitem_id 0
		.amdhsa_next_free_vgpr 24
		.amdhsa_next_free_sgpr 7
		.amdhsa_accum_offset 24
		.amdhsa_reserve_vcc 1
		.amdhsa_reserve_flat_scratch 0
		.amdhsa_float_round_mode_32 0
		.amdhsa_float_round_mode_16_64 0
		.amdhsa_float_denorm_mode_32 3
		.amdhsa_float_denorm_mode_16_64 3
		.amdhsa_dx10_clamp 1
		.amdhsa_ieee_mode 1
		.amdhsa_fp16_overflow 0
		.amdhsa_tg_split 0
		.amdhsa_exception_fp_ieee_invalid_op 0
		.amdhsa_exception_fp_denorm_src 0
		.amdhsa_exception_fp_ieee_div_zero 0
		.amdhsa_exception_fp_ieee_overflow 0
		.amdhsa_exception_fp_ieee_underflow 0
		.amdhsa_exception_fp_ieee_inexact 0
		.amdhsa_exception_int_div_zero 0
	.end_amdhsa_kernel
	.section	.text._Z26sort_keys_values_segmentedILj512ELj64ELj1ELb0EsiN10test_utils4lessEEvPT3_PT4_PKjT5_,"axG",@progbits,_Z26sort_keys_values_segmentedILj512ELj64ELj1ELb0EsiN10test_utils4lessEEvPT3_PT4_PKjT5_,comdat
.Lfunc_end18:
	.size	_Z26sort_keys_values_segmentedILj512ELj64ELj1ELb0EsiN10test_utils4lessEEvPT3_PT4_PKjT5_, .Lfunc_end18-_Z26sort_keys_values_segmentedILj512ELj64ELj1ELb0EsiN10test_utils4lessEEvPT3_PT4_PKjT5_
                                        ; -- End function
	.section	.AMDGPU.csdata,"",@progbits
; Kernel info:
; codeLenInByte = 2436
; NumSgprs: 11
; NumVgprs: 24
; NumAgprs: 0
; TotalNumVgprs: 24
; ScratchSize: 0
; MemoryBound: 0
; FloatMode: 240
; IeeeMode: 1
; LDSByteSize: 2080 bytes/workgroup (compile time only)
; SGPRBlocks: 1
; VGPRBlocks: 2
; NumSGPRsForWavesPerEU: 11
; NumVGPRsForWavesPerEU: 24
; AccumOffset: 24
; Occupancy: 8
; WaveLimiterHint : 0
; COMPUTE_PGM_RSRC2:SCRATCH_EN: 0
; COMPUTE_PGM_RSRC2:USER_SGPR: 6
; COMPUTE_PGM_RSRC2:TRAP_HANDLER: 0
; COMPUTE_PGM_RSRC2:TGID_X_EN: 1
; COMPUTE_PGM_RSRC2:TGID_Y_EN: 0
; COMPUTE_PGM_RSRC2:TGID_Z_EN: 0
; COMPUTE_PGM_RSRC2:TIDIG_COMP_CNT: 0
; COMPUTE_PGM_RSRC3_GFX90A:ACCUM_OFFSET: 5
; COMPUTE_PGM_RSRC3_GFX90A:TG_SPLIT: 0
	.section	.text._Z26sort_keys_values_segmentedILj32ELj32ELj1ELb0EdiN10test_utils4lessEEvPT3_PT4_PKjT5_,"axG",@progbits,_Z26sort_keys_values_segmentedILj32ELj32ELj1ELb0EdiN10test_utils4lessEEvPT3_PT4_PKjT5_,comdat
	.protected	_Z26sort_keys_values_segmentedILj32ELj32ELj1ELb0EdiN10test_utils4lessEEvPT3_PT4_PKjT5_ ; -- Begin function _Z26sort_keys_values_segmentedILj32ELj32ELj1ELb0EdiN10test_utils4lessEEvPT3_PT4_PKjT5_
	.globl	_Z26sort_keys_values_segmentedILj32ELj32ELj1ELb0EdiN10test_utils4lessEEvPT3_PT4_PKjT5_
	.p2align	8
	.type	_Z26sort_keys_values_segmentedILj32ELj32ELj1ELb0EdiN10test_utils4lessEEvPT3_PT4_PKjT5_,@function
_Z26sort_keys_values_segmentedILj32ELj32ELj1ELb0EdiN10test_utils4lessEEvPT3_PT4_PKjT5_: ; @_Z26sort_keys_values_segmentedILj32ELj32ELj1ELb0EdiN10test_utils4lessEEvPT3_PT4_PKjT5_
; %bb.0:
	s_load_dwordx4 s[0:3], s[4:5], 0x0
	s_load_dwordx2 s[8:9], s[4:5], 0x10
	s_mov_b32 s7, 0
	s_lshl_b64 s[4:5], s[6:7], 2
	v_mbcnt_lo_u32_b32 v0, -1, 0
	v_mbcnt_hi_u32_b32 v5, -1, v0
	s_waitcnt lgkmcnt(0)
	s_add_u32 s4, s8, s4
	s_addc_u32 s5, s9, s5
	s_load_dword s8, s[4:5], 0x0
	s_lshl_b32 s6, s6, 5
	s_lshl_b64 s[4:5], s[6:7], 3
	s_add_u32 s0, s0, s4
	v_and_b32_e32 v4, 31, v5
	s_addc_u32 s1, s1, s5
	v_pk_mov_b32 v[0:1], s[0:1], s[0:1] op_sel:[0,1]
	s_waitcnt lgkmcnt(0)
	v_cmp_gt_u32_e32 vcc, s8, v4
	v_lshlrev_b32_e32 v6, 3, v4
                                        ; implicit-def: $vgpr2_vgpr3
	s_and_saveexec_b64 s[4:5], vcc
	s_cbranch_execz .LBB19_2
; %bb.1:
	v_add_co_u32_e64 v2, s[0:1], v0, v6
	v_addc_co_u32_e64 v3, s[0:1], 0, v1, s[0:1]
	global_load_dwordx2 v[2:3], v[2:3], off
.LBB19_2:
	s_or_b64 exec, exec, s[4:5]
	v_lshlrev_b64 v[8:9], 2, s[6:7]
	v_mov_b32_e32 v10, s3
	v_add_co_u32_e64 v7, s[0:1], s2, v8
	v_addc_co_u32_e64 v8, s[0:1], v10, v9, s[0:1]
	v_lshlrev_b32_e32 v9, 2, v4
                                        ; implicit-def: $vgpr10
	s_and_saveexec_b64 s[2:3], vcc
	s_cbranch_execz .LBB19_4
; %bb.3:
	v_add_co_u32_e64 v10, s[0:1], v7, v9
	v_addc_co_u32_e64 v11, s[0:1], 0, v8, s[0:1]
	global_load_dword v10, v[10:11], off
.LBB19_4:
	s_or_b64 exec, exec, s[2:3]
	; wave barrier
	s_waitcnt vmcnt(0)
	ds_write_b64 v6, v[2:3]
	v_and_b32_e32 v2, 30, v5
	v_and_b32_e32 v3, 1, v5
	v_min_i32_e32 v2, s8, v2
	v_min_i32_e32 v12, s8, v3
	v_add_u32_e32 v3, 1, v2
	v_min_i32_e32 v3, s8, v3
	v_add_u32_e32 v11, 1, v3
	v_min_i32_e32 v11, s8, v11
	v_sub_u32_e32 v13, v11, v3
	v_sub_u32_e32 v15, v3, v2
	;; [unrolled: 1-line block ×3, first 2 shown]
	v_cmp_ge_i32_e64 s[0:1], v12, v13
	v_cndmask_b32_e64 v13, 0, v16, s[0:1]
	v_min_i32_e32 v15, v12, v15
	v_lshlrev_b32_e32 v14, 3, v2
	v_cmp_lt_i32_e64 s[0:1], v13, v15
	; wave barrier
	s_and_saveexec_b64 s[2:3], s[0:1]
	s_cbranch_execz .LBB19_8
; %bb.5:
	v_lshlrev_b32_e32 v16, 3, v12
	v_lshl_add_u32 v16, v3, 3, v16
	s_mov_b64 s[4:5], 0
.LBB19_6:                               ; =>This Inner Loop Header: Depth=1
	v_sub_u32_e32 v17, v15, v13
	v_lshrrev_b32_e32 v18, 31, v17
	v_add_u32_e32 v17, v17, v18
	v_ashrrev_i32_e32 v17, 1, v17
	v_add_u32_e32 v17, v17, v13
	v_not_b32_e32 v19, v17
	v_lshl_add_u32 v18, v17, 3, v14
	v_lshl_add_u32 v20, v19, 3, v16
	ds_read_b64 v[18:19], v18
	ds_read_b64 v[20:21], v20
	v_add_u32_e32 v22, 1, v17
	s_waitcnt lgkmcnt(0)
	v_cmp_lt_f64_e64 s[0:1], v[20:21], v[18:19]
	v_cndmask_b32_e64 v15, v15, v17, s[0:1]
	v_cndmask_b32_e64 v13, v22, v13, s[0:1]
	v_cmp_ge_i32_e64 s[0:1], v13, v15
	s_or_b64 s[4:5], s[0:1], s[4:5]
	s_andn2_b64 exec, exec, s[4:5]
	s_cbranch_execnz .LBB19_6
; %bb.7:
	s_or_b64 exec, exec, s[4:5]
.LBB19_8:
	s_or_b64 exec, exec, s[2:3]
	v_add_u32_e32 v12, v3, v12
	v_sub_u32_e32 v18, v12, v13
	v_lshl_add_u32 v12, v13, 3, v14
	v_lshlrev_b32_e32 v16, 3, v18
	ds_read_b64 v[14:15], v12
	ds_read_b64 v[16:17], v16
	v_add_u32_e32 v2, v13, v2
	v_cmp_le_i32_e64 s[2:3], v3, v2
	v_cmp_gt_i32_e64 s[0:1], v11, v18
	v_sub_u32_e32 v3, v6, v9
	s_waitcnt lgkmcnt(0)
	v_cmp_lt_f64_e64 s[4:5], v[16:17], v[14:15]
	s_or_b64 s[2:3], s[2:3], s[4:5]
	s_and_b64 s[0:1], s[0:1], s[2:3]
	v_cndmask_b32_e64 v2, v2, v18, s[0:1]
	; wave barrier
	ds_write_b32 v3, v10
	v_and_b32_e32 v3, 28, v5
	v_cndmask_b32_e64 v13, v15, v17, s[0:1]
	v_cndmask_b32_e64 v12, v14, v16, s[0:1]
	v_lshlrev_b32_e32 v2, 2, v2
	v_and_b32_e32 v10, 3, v5
	v_min_i32_e32 v3, s8, v3
	; wave barrier
	ds_read_b32 v2, v2
	; wave barrier
	ds_write_b64 v6, v[12:13]
	v_min_i32_e32 v12, s8, v10
	v_add_u32_e32 v10, 2, v3
	v_min_i32_e32 v10, s8, v10
	v_add_u32_e32 v11, 2, v10
	v_min_i32_e32 v11, s8, v11
	v_sub_u32_e32 v13, v11, v10
	v_sub_u32_e32 v15, v10, v3
	v_sub_u32_e32 v16, v12, v13
	v_cmp_ge_i32_e64 s[0:1], v12, v13
	v_cndmask_b32_e64 v13, 0, v16, s[0:1]
	v_min_i32_e32 v15, v12, v15
	v_lshlrev_b32_e32 v14, 3, v3
	v_cmp_lt_i32_e64 s[0:1], v13, v15
	; wave barrier
	s_and_saveexec_b64 s[2:3], s[0:1]
	s_cbranch_execz .LBB19_12
; %bb.9:
	v_lshlrev_b32_e32 v16, 3, v12
	v_lshl_add_u32 v16, v10, 3, v16
	s_mov_b64 s[4:5], 0
.LBB19_10:                              ; =>This Inner Loop Header: Depth=1
	v_sub_u32_e32 v17, v15, v13
	v_lshrrev_b32_e32 v18, 31, v17
	v_add_u32_e32 v17, v17, v18
	v_ashrrev_i32_e32 v17, 1, v17
	v_add_u32_e32 v17, v17, v13
	v_not_b32_e32 v19, v17
	v_lshl_add_u32 v18, v17, 3, v14
	v_lshl_add_u32 v20, v19, 3, v16
	ds_read_b64 v[18:19], v18
	ds_read_b64 v[20:21], v20
	v_add_u32_e32 v22, 1, v17
	s_waitcnt lgkmcnt(0)
	v_cmp_lt_f64_e64 s[0:1], v[20:21], v[18:19]
	v_cndmask_b32_e64 v15, v15, v17, s[0:1]
	v_cndmask_b32_e64 v13, v22, v13, s[0:1]
	v_cmp_ge_i32_e64 s[0:1], v13, v15
	s_or_b64 s[4:5], s[0:1], s[4:5]
	s_andn2_b64 exec, exec, s[4:5]
	s_cbranch_execnz .LBB19_10
; %bb.11:
	s_or_b64 exec, exec, s[4:5]
.LBB19_12:
	s_or_b64 exec, exec, s[2:3]
	v_add_u32_e32 v12, v10, v12
	v_sub_u32_e32 v20, v12, v13
	v_lshl_add_u32 v12, v13, 3, v14
	v_lshlrev_b32_e32 v14, 3, v20
	ds_read_b64 v[16:17], v12
	ds_read_b64 v[18:19], v14
	v_add_u32_e32 v3, v13, v3
	v_cmp_le_i32_e64 s[2:3], v10, v3
	v_cmp_gt_i32_e64 s[0:1], v11, v20
	v_sub_u32_e32 v15, 0, v9
	s_waitcnt lgkmcnt(0)
	v_cmp_lt_f64_e64 s[4:5], v[18:19], v[16:17]
	s_or_b64 s[2:3], s[2:3], s[4:5]
	s_and_b64 s[0:1], s[0:1], s[2:3]
	v_cndmask_b32_e64 v3, v3, v20, s[0:1]
	v_add_u32_e32 v10, v6, v15
	; wave barrier
	ds_write_b32 v10, v2
	v_lshlrev_b32_e32 v2, 2, v3
	v_and_b32_e32 v3, 24, v5
	v_cndmask_b32_e64 v13, v17, v19, s[0:1]
	v_cndmask_b32_e64 v12, v16, v18, s[0:1]
	v_and_b32_e32 v11, 7, v5
	v_min_i32_e32 v3, s8, v3
	; wave barrier
	ds_read_b32 v2, v2
	; wave barrier
	ds_write_b64 v6, v[12:13]
	v_min_i32_e32 v13, s8, v11
	v_add_u32_e32 v11, 4, v3
	v_min_i32_e32 v11, s8, v11
	v_add_u32_e32 v12, 4, v11
	v_min_i32_e32 v12, s8, v12
	v_sub_u32_e32 v14, v12, v11
	v_sub_u32_e32 v16, v11, v3
	;; [unrolled: 1-line block ×3, first 2 shown]
	v_cmp_ge_i32_e64 s[0:1], v13, v14
	v_cndmask_b32_e64 v14, 0, v17, s[0:1]
	v_min_i32_e32 v16, v13, v16
	v_lshlrev_b32_e32 v15, 3, v3
	v_cmp_lt_i32_e64 s[0:1], v14, v16
	; wave barrier
	s_and_saveexec_b64 s[2:3], s[0:1]
	s_cbranch_execz .LBB19_16
; %bb.13:
	v_lshlrev_b32_e32 v17, 3, v13
	v_lshl_add_u32 v17, v11, 3, v17
	s_mov_b64 s[4:5], 0
.LBB19_14:                              ; =>This Inner Loop Header: Depth=1
	v_sub_u32_e32 v18, v16, v14
	v_lshrrev_b32_e32 v19, 31, v18
	v_add_u32_e32 v18, v18, v19
	v_ashrrev_i32_e32 v18, 1, v18
	v_add_u32_e32 v22, v18, v14
	v_not_b32_e32 v19, v22
	v_lshl_add_u32 v18, v22, 3, v15
	v_lshl_add_u32 v20, v19, 3, v17
	ds_read_b64 v[18:19], v18
	ds_read_b64 v[20:21], v20
	v_add_u32_e32 v23, 1, v22
	s_waitcnt lgkmcnt(0)
	v_cmp_lt_f64_e64 s[0:1], v[20:21], v[18:19]
	v_cndmask_b32_e64 v16, v16, v22, s[0:1]
	v_cndmask_b32_e64 v14, v23, v14, s[0:1]
	v_cmp_ge_i32_e64 s[0:1], v14, v16
	s_or_b64 s[4:5], s[0:1], s[4:5]
	s_andn2_b64 exec, exec, s[4:5]
	s_cbranch_execnz .LBB19_14
; %bb.15:
	s_or_b64 exec, exec, s[4:5]
.LBB19_16:
	s_or_b64 exec, exec, s[2:3]
	v_add_u32_e32 v13, v11, v13
	v_sub_u32_e32 v20, v13, v14
	v_lshl_add_u32 v13, v14, 3, v15
	v_lshlrev_b32_e32 v15, 3, v20
	ds_read_b64 v[16:17], v13
	ds_read_b64 v[18:19], v15
	v_add_u32_e32 v3, v14, v3
	v_cmp_le_i32_e64 s[2:3], v11, v3
	v_cmp_gt_i32_e64 s[0:1], v12, v20
	s_waitcnt lgkmcnt(0)
	v_cmp_lt_f64_e64 s[4:5], v[18:19], v[16:17]
	s_or_b64 s[2:3], s[2:3], s[4:5]
	s_and_b64 s[0:1], s[0:1], s[2:3]
	v_cndmask_b32_e64 v3, v3, v20, s[0:1]
	; wave barrier
	ds_write_b32 v10, v2
	v_lshlrev_b32_e32 v2, 2, v3
	v_and_b32_e32 v3, 16, v5
	v_cndmask_b32_e64 v13, v17, v19, s[0:1]
	v_cndmask_b32_e64 v12, v16, v18, s[0:1]
	v_and_b32_e32 v5, 15, v5
	v_min_i32_e32 v3, s8, v3
	; wave barrier
	ds_read_b32 v2, v2
	; wave barrier
	ds_write_b64 v6, v[12:13]
	v_min_i32_e32 v12, s8, v5
	v_add_u32_e32 v5, 8, v3
	v_min_i32_e32 v5, s8, v5
	v_add_u32_e32 v11, 8, v5
	v_min_i32_e32 v11, s8, v11
	v_sub_u32_e32 v13, v11, v5
	v_sub_u32_e32 v15, v5, v3
	;; [unrolled: 1-line block ×3, first 2 shown]
	v_cmp_ge_i32_e64 s[0:1], v12, v13
	v_cndmask_b32_e64 v13, 0, v16, s[0:1]
	v_min_i32_e32 v15, v12, v15
	v_lshlrev_b32_e32 v14, 3, v3
	v_cmp_lt_i32_e64 s[0:1], v13, v15
	; wave barrier
	s_and_saveexec_b64 s[2:3], s[0:1]
	s_cbranch_execz .LBB19_20
; %bb.17:
	v_lshlrev_b32_e32 v16, 3, v12
	v_lshl_add_u32 v16, v5, 3, v16
	s_mov_b64 s[4:5], 0
.LBB19_18:                              ; =>This Inner Loop Header: Depth=1
	v_sub_u32_e32 v17, v15, v13
	v_lshrrev_b32_e32 v18, 31, v17
	v_add_u32_e32 v17, v17, v18
	v_ashrrev_i32_e32 v17, 1, v17
	v_add_u32_e32 v17, v17, v13
	v_not_b32_e32 v19, v17
	v_lshl_add_u32 v18, v17, 3, v14
	v_lshl_add_u32 v20, v19, 3, v16
	ds_read_b64 v[18:19], v18
	ds_read_b64 v[20:21], v20
	v_add_u32_e32 v22, 1, v17
	s_waitcnt lgkmcnt(0)
	v_cmp_lt_f64_e64 s[0:1], v[20:21], v[18:19]
	v_cndmask_b32_e64 v15, v15, v17, s[0:1]
	v_cndmask_b32_e64 v13, v22, v13, s[0:1]
	v_cmp_ge_i32_e64 s[0:1], v13, v15
	s_or_b64 s[4:5], s[0:1], s[4:5]
	s_andn2_b64 exec, exec, s[4:5]
	s_cbranch_execnz .LBB19_18
; %bb.19:
	s_or_b64 exec, exec, s[4:5]
.LBB19_20:
	s_or_b64 exec, exec, s[2:3]
	v_add_u32_e32 v12, v5, v12
	v_sub_u32_e32 v12, v12, v13
	v_lshl_add_u32 v14, v13, 3, v14
	v_lshlrev_b32_e32 v16, 3, v12
	ds_read_b64 v[14:15], v14
	ds_read_b64 v[16:17], v16
	v_add_u32_e32 v3, v13, v3
	v_cmp_le_i32_e64 s[2:3], v5, v3
	v_cmp_gt_i32_e64 s[0:1], v11, v12
	v_min_i32_e64 v11, s8, 0
	s_waitcnt lgkmcnt(0)
	v_cmp_lt_f64_e64 s[4:5], v[16:17], v[14:15]
	s_or_b64 s[2:3], s[2:3], s[4:5]
	s_and_b64 s[0:1], s[0:1], s[2:3]
	v_cndmask_b32_e64 v3, v3, v12, s[0:1]
	; wave barrier
	ds_write_b32 v10, v2
	v_lshlrev_b32_e32 v2, 2, v3
	v_add_u32_e32 v3, 16, v11
	v_min_i32_e32 v12, s8, v3
	v_cndmask_b32_e64 v15, v15, v17, s[0:1]
	v_cndmask_b32_e64 v14, v14, v16, s[0:1]
	v_add_u32_e32 v3, 16, v12
	; wave barrier
	ds_read_b32 v13, v2
	; wave barrier
	ds_write_b64 v6, v[14:15]
	v_min_i32_e32 v14, s8, v3
	v_min_i32_e32 v2, s8, v4
	v_sub_u32_e32 v5, v14, v12
	v_sub_u32_e32 v4, v12, v11
	;; [unrolled: 1-line block ×3, first 2 shown]
	v_cmp_ge_i32_e64 s[0:1], v2, v5
	v_cndmask_b32_e64 v15, 0, v15, s[0:1]
	v_min_i32_e32 v4, v2, v4
	v_lshlrev_b32_e32 v3, 3, v11
	v_cmp_lt_i32_e64 s[0:1], v15, v4
	; wave barrier
	s_and_saveexec_b64 s[2:3], s[0:1]
	s_cbranch_execz .LBB19_24
; %bb.21:
	v_lshlrev_b32_e32 v5, 3, v2
	v_lshl_add_u32 v5, v12, 3, v5
	s_mov_b64 s[4:5], 0
.LBB19_22:                              ; =>This Inner Loop Header: Depth=1
	v_sub_u32_e32 v16, v4, v15
	v_lshrrev_b32_e32 v17, 31, v16
	v_add_u32_e32 v16, v16, v17
	v_ashrrev_i32_e32 v16, 1, v16
	v_add_u32_e32 v20, v16, v15
	v_not_b32_e32 v17, v20
	v_lshl_add_u32 v16, v20, 3, v3
	v_lshl_add_u32 v18, v17, 3, v5
	ds_read_b64 v[16:17], v16
	ds_read_b64 v[18:19], v18
	v_add_u32_e32 v21, 1, v20
	s_waitcnt lgkmcnt(0)
	v_cmp_lt_f64_e64 s[0:1], v[18:19], v[16:17]
	v_cndmask_b32_e64 v4, v4, v20, s[0:1]
	v_cndmask_b32_e64 v15, v21, v15, s[0:1]
	v_cmp_ge_i32_e64 s[0:1], v15, v4
	s_or_b64 s[4:5], s[0:1], s[4:5]
	s_andn2_b64 exec, exec, s[4:5]
	s_cbranch_execnz .LBB19_22
; %bb.23:
	s_or_b64 exec, exec, s[4:5]
.LBB19_24:
	s_or_b64 exec, exec, s[2:3]
	v_add_u32_e32 v2, v12, v2
	v_sub_u32_e32 v16, v2, v15
	v_lshl_add_u32 v2, v15, 3, v3
	v_lshlrev_b32_e32 v4, 3, v16
	ds_read_b64 v[2:3], v2
	ds_read_b64 v[4:5], v4
	; wave barrier
	s_waitcnt lgkmcnt(3)
	ds_write_b32 v10, v13
	; wave barrier
	s_and_saveexec_b64 s[0:1], vcc
	s_cbranch_execz .LBB19_26
; %bb.25:
	v_add_u32_e32 v10, v15, v11
	v_cmp_le_i32_e64 s[0:1], v12, v10
	s_waitcnt lgkmcnt(1)
	v_cmp_lt_f64_e64 s[2:3], v[4:5], v[2:3]
	v_cmp_gt_i32_e32 vcc, v14, v16
	s_or_b64 s[0:1], s[0:1], s[2:3]
	s_and_b64 vcc, vcc, s[0:1]
	v_cndmask_b32_e32 v10, v10, v16, vcc
	v_lshlrev_b32_e32 v10, 2, v10
	ds_read_b32 v10, v10
	v_add_co_u32_e64 v0, s[0:1], v0, v6
	v_addc_co_u32_e64 v1, s[0:1], 0, v1, s[0:1]
	v_cndmask_b32_e32 v3, v3, v5, vcc
	v_cndmask_b32_e32 v2, v2, v4, vcc
	global_store_dwordx2 v[0:1], v[2:3], off
	v_add_co_u32_e32 v0, vcc, v7, v9
	v_addc_co_u32_e32 v1, vcc, 0, v8, vcc
	s_waitcnt lgkmcnt(0)
	global_store_dword v[0:1], v10, off
.LBB19_26:
	s_endpgm
	.section	.rodata,"a",@progbits
	.p2align	6, 0x0
	.amdhsa_kernel _Z26sort_keys_values_segmentedILj32ELj32ELj1ELb0EdiN10test_utils4lessEEvPT3_PT4_PKjT5_
		.amdhsa_group_segment_fixed_size 264
		.amdhsa_private_segment_fixed_size 0
		.amdhsa_kernarg_size 28
		.amdhsa_user_sgpr_count 6
		.amdhsa_user_sgpr_private_segment_buffer 1
		.amdhsa_user_sgpr_dispatch_ptr 0
		.amdhsa_user_sgpr_queue_ptr 0
		.amdhsa_user_sgpr_kernarg_segment_ptr 1
		.amdhsa_user_sgpr_dispatch_id 0
		.amdhsa_user_sgpr_flat_scratch_init 0
		.amdhsa_user_sgpr_kernarg_preload_length 0
		.amdhsa_user_sgpr_kernarg_preload_offset 0
		.amdhsa_user_sgpr_private_segment_size 0
		.amdhsa_uses_dynamic_stack 0
		.amdhsa_system_sgpr_private_segment_wavefront_offset 0
		.amdhsa_system_sgpr_workgroup_id_x 1
		.amdhsa_system_sgpr_workgroup_id_y 0
		.amdhsa_system_sgpr_workgroup_id_z 0
		.amdhsa_system_sgpr_workgroup_info 0
		.amdhsa_system_vgpr_workitem_id 0
		.amdhsa_next_free_vgpr 24
		.amdhsa_next_free_sgpr 10
		.amdhsa_accum_offset 24
		.amdhsa_reserve_vcc 1
		.amdhsa_reserve_flat_scratch 0
		.amdhsa_float_round_mode_32 0
		.amdhsa_float_round_mode_16_64 0
		.amdhsa_float_denorm_mode_32 3
		.amdhsa_float_denorm_mode_16_64 3
		.amdhsa_dx10_clamp 1
		.amdhsa_ieee_mode 1
		.amdhsa_fp16_overflow 0
		.amdhsa_tg_split 0
		.amdhsa_exception_fp_ieee_invalid_op 0
		.amdhsa_exception_fp_denorm_src 0
		.amdhsa_exception_fp_ieee_div_zero 0
		.amdhsa_exception_fp_ieee_overflow 0
		.amdhsa_exception_fp_ieee_underflow 0
		.amdhsa_exception_fp_ieee_inexact 0
		.amdhsa_exception_int_div_zero 0
	.end_amdhsa_kernel
	.section	.text._Z26sort_keys_values_segmentedILj32ELj32ELj1ELb0EdiN10test_utils4lessEEvPT3_PT4_PKjT5_,"axG",@progbits,_Z26sort_keys_values_segmentedILj32ELj32ELj1ELb0EdiN10test_utils4lessEEvPT3_PT4_PKjT5_,comdat
.Lfunc_end19:
	.size	_Z26sort_keys_values_segmentedILj32ELj32ELj1ELb0EdiN10test_utils4lessEEvPT3_PT4_PKjT5_, .Lfunc_end19-_Z26sort_keys_values_segmentedILj32ELj32ELj1ELb0EdiN10test_utils4lessEEvPT3_PT4_PKjT5_
                                        ; -- End function
	.section	.AMDGPU.csdata,"",@progbits
; Kernel info:
; codeLenInByte = 1980
; NumSgprs: 14
; NumVgprs: 24
; NumAgprs: 0
; TotalNumVgprs: 24
; ScratchSize: 0
; MemoryBound: 0
; FloatMode: 240
; IeeeMode: 1
; LDSByteSize: 264 bytes/workgroup (compile time only)
; SGPRBlocks: 1
; VGPRBlocks: 2
; NumSGPRsForWavesPerEU: 14
; NumVGPRsForWavesPerEU: 24
; AccumOffset: 24
; Occupancy: 8
; WaveLimiterHint : 0
; COMPUTE_PGM_RSRC2:SCRATCH_EN: 0
; COMPUTE_PGM_RSRC2:USER_SGPR: 6
; COMPUTE_PGM_RSRC2:TRAP_HANDLER: 0
; COMPUTE_PGM_RSRC2:TGID_X_EN: 1
; COMPUTE_PGM_RSRC2:TGID_Y_EN: 0
; COMPUTE_PGM_RSRC2:TGID_Z_EN: 0
; COMPUTE_PGM_RSRC2:TIDIG_COMP_CNT: 0
; COMPUTE_PGM_RSRC3_GFX90A:ACCUM_OFFSET: 5
; COMPUTE_PGM_RSRC3_GFX90A:TG_SPLIT: 0
	.section	.text._Z26sort_keys_values_segmentedILj64ELj16ELj1ELb0EfcN10test_utils4lessEEvPT3_PT4_PKjT5_,"axG",@progbits,_Z26sort_keys_values_segmentedILj64ELj16ELj1ELb0EfcN10test_utils4lessEEvPT3_PT4_PKjT5_,comdat
	.protected	_Z26sort_keys_values_segmentedILj64ELj16ELj1ELb0EfcN10test_utils4lessEEvPT3_PT4_PKjT5_ ; -- Begin function _Z26sort_keys_values_segmentedILj64ELj16ELj1ELb0EfcN10test_utils4lessEEvPT3_PT4_PKjT5_
	.globl	_Z26sort_keys_values_segmentedILj64ELj16ELj1ELb0EfcN10test_utils4lessEEvPT3_PT4_PKjT5_
	.p2align	8
	.type	_Z26sort_keys_values_segmentedILj64ELj16ELj1ELb0EfcN10test_utils4lessEEvPT3_PT4_PKjT5_,@function
_Z26sort_keys_values_segmentedILj64ELj16ELj1ELb0EfcN10test_utils4lessEEvPT3_PT4_PKjT5_: ; @_Z26sort_keys_values_segmentedILj64ELj16ELj1ELb0EfcN10test_utils4lessEEvPT3_PT4_PKjT5_
; %bb.0:
	s_load_dwordx2 s[0:1], s[4:5], 0x10
	v_lshrrev_b32_e32 v9, 4, v0
	v_lshl_or_b32 v0, s6, 2, v9
	v_mov_b32_e32 v1, 0
	v_lshlrev_b64 v[2:3], 2, v[0:1]
	s_waitcnt lgkmcnt(0)
	v_mov_b32_e32 v4, s1
	v_add_co_u32_e32 v2, vcc, s0, v2
	v_addc_co_u32_e32 v3, vcc, v4, v3, vcc
	global_load_dword v7, v[2:3], off
	s_load_dwordx4 s[0:3], s[4:5], 0x0
	v_lshlrev_b32_e32 v0, 4, v0
	v_mbcnt_lo_u32_b32 v2, -1, 0
	v_lshlrev_b64 v[4:5], 2, v[0:1]
	v_mbcnt_hi_u32_b32 v10, -1, v2
	s_waitcnt lgkmcnt(0)
	v_mov_b32_e32 v3, s1
	v_add_co_u32_e32 v1, vcc, s0, v4
	v_and_b32_e32 v2, 15, v10
	v_addc_co_u32_e32 v3, vcc, v3, v5, vcc
	v_lshlrev_b32_e32 v4, 2, v2
                                        ; implicit-def: $vgpr12
	s_waitcnt vmcnt(0)
	v_cmp_lt_u32_e32 vcc, v2, v7
	s_and_saveexec_b64 s[4:5], vcc
	s_cbranch_execz .LBB20_2
; %bb.1:
	v_add_co_u32_e64 v12, s[0:1], v1, v4
	v_addc_co_u32_e64 v13, s[0:1], 0, v3, s[0:1]
	global_load_dword v12, v[12:13], off
.LBB20_2:
	s_or_b64 exec, exec, s[4:5]
	v_mov_b32_e32 v5, s3
	v_add_co_u32_e64 v0, s[0:1], s2, v0
	v_addc_co_u32_e64 v5, s[0:1], 0, v5, s[0:1]
                                        ; implicit-def: $vgpr11
	s_and_saveexec_b64 s[2:3], vcc
	s_cbranch_execz .LBB20_4
; %bb.3:
	v_add_co_u32_e64 v14, s[0:1], v0, v2
	v_addc_co_u32_e64 v15, s[0:1], 0, v5, s[0:1]
	global_load_ubyte v11, v[14:15], off
.LBB20_4:
	s_or_b64 exec, exec, s[2:3]
	s_movk_i32 s0, 0x44
	v_mad_u32_u24 v8, v9, s0, v4
	; wave barrier
	s_waitcnt vmcnt(0)
	ds_write_b32 v8, v12
	v_and_b32_e32 v12, 14, v10
	v_and_b32_e32 v13, 1, v10
	v_min_i32_e32 v12, v7, v12
	v_min_i32_e32 v15, v7, v13
	v_add_u32_e32 v13, 1, v12
	v_min_i32_e32 v13, v7, v13
	v_add_u32_e32 v14, 1, v13
	v_min_i32_e32 v14, v7, v14
	v_sub_u32_e32 v18, v14, v13
	v_lshlrev_b32_e32 v16, 2, v12
	v_mul_u32_u24_e32 v6, 0x44, v9
	v_sub_u32_e32 v17, v13, v12
	v_mad_u32_u24 v16, v9, s0, v16
	v_sub_u32_e32 v9, v15, v18
	v_cmp_ge_i32_e64 s[0:1], v15, v18
	v_cndmask_b32_e64 v9, 0, v9, s[0:1]
	v_min_i32_e32 v17, v15, v17
	v_cmp_lt_i32_e64 s[0:1], v9, v17
	; wave barrier
	s_and_saveexec_b64 s[2:3], s[0:1]
	s_cbranch_execz .LBB20_8
; %bb.5:
	v_lshlrev_b32_e32 v18, 2, v13
	v_lshlrev_b32_e32 v19, 2, v15
	v_add3_u32 v18, v6, v18, v19
	s_mov_b64 s[4:5], 0
.LBB20_6:                               ; =>This Inner Loop Header: Depth=1
	v_sub_u32_e32 v19, v17, v9
	v_lshrrev_b32_e32 v20, 31, v19
	v_add_u32_e32 v19, v19, v20
	v_ashrrev_i32_e32 v19, 1, v19
	v_add_u32_e32 v19, v19, v9
	v_not_b32_e32 v21, v19
	v_lshl_add_u32 v20, v19, 2, v16
	v_lshl_add_u32 v21, v21, 2, v18
	ds_read_b32 v20, v20
	ds_read_b32 v21, v21
	v_add_u32_e32 v22, 1, v19
	s_waitcnt lgkmcnt(0)
	v_cmp_lt_f32_e64 s[0:1], v21, v20
	v_cndmask_b32_e64 v17, v17, v19, s[0:1]
	v_cndmask_b32_e64 v9, v22, v9, s[0:1]
	v_cmp_ge_i32_e64 s[0:1], v9, v17
	s_or_b64 s[4:5], s[0:1], s[4:5]
	s_andn2_b64 exec, exec, s[4:5]
	s_cbranch_execnz .LBB20_6
; %bb.7:
	s_or_b64 exec, exec, s[4:5]
.LBB20_8:
	s_or_b64 exec, exec, s[2:3]
	v_add_u32_e32 v15, v13, v15
	v_sub_u32_e32 v15, v15, v9
	v_lshl_add_u32 v16, v9, 2, v16
	v_lshl_add_u32 v17, v15, 2, v6
	ds_read_b32 v16, v16
	ds_read_b32 v17, v17
	v_add_u32_e32 v9, v9, v12
	v_cmp_le_i32_e64 s[2:3], v13, v9
	v_cmp_gt_i32_e64 s[0:1], v14, v15
	s_waitcnt lgkmcnt(0)
	v_cmp_lt_f32_e64 s[4:5], v17, v16
	s_or_b64 s[2:3], s[2:3], s[4:5]
	s_and_b64 s[0:1], s[0:1], s[2:3]
	v_cndmask_b32_e64 v13, v9, v15, s[0:1]
	v_add_u32_e32 v9, v6, v2
	v_cndmask_b32_e64 v12, v16, v17, s[0:1]
	; wave barrier
	ds_write_b8 v9, v11
	v_add_u32_e32 v11, v6, v13
	; wave barrier
	ds_read_u8 v11, v11
	; wave barrier
	ds_write_b32 v8, v12
	v_and_b32_e32 v12, 12, v10
	v_and_b32_e32 v13, 3, v10
	v_min_i32_e32 v12, v7, v12
	v_min_i32_e32 v15, v7, v13
	v_add_u32_e32 v13, 2, v12
	v_min_i32_e32 v13, v7, v13
	v_add_u32_e32 v14, 2, v13
	v_min_i32_e32 v14, v7, v14
	v_sub_u32_e32 v16, v14, v13
	v_sub_u32_e32 v18, v13, v12
	;; [unrolled: 1-line block ×3, first 2 shown]
	v_cmp_ge_i32_e64 s[0:1], v15, v16
	v_cndmask_b32_e64 v16, 0, v19, s[0:1]
	v_min_i32_e32 v18, v15, v18
	v_lshl_add_u32 v17, v12, 2, v6
	v_cmp_lt_i32_e64 s[0:1], v16, v18
	; wave barrier
	s_and_saveexec_b64 s[2:3], s[0:1]
	s_cbranch_execz .LBB20_12
; %bb.9:
	v_lshlrev_b32_e32 v19, 2, v13
	v_lshlrev_b32_e32 v20, 2, v15
	v_add3_u32 v19, v6, v19, v20
	s_mov_b64 s[4:5], 0
.LBB20_10:                              ; =>This Inner Loop Header: Depth=1
	v_sub_u32_e32 v20, v18, v16
	v_lshrrev_b32_e32 v21, 31, v20
	v_add_u32_e32 v20, v20, v21
	v_ashrrev_i32_e32 v20, 1, v20
	v_add_u32_e32 v20, v20, v16
	v_not_b32_e32 v22, v20
	v_lshl_add_u32 v21, v20, 2, v17
	v_lshl_add_u32 v22, v22, 2, v19
	ds_read_b32 v21, v21
	ds_read_b32 v22, v22
	v_add_u32_e32 v23, 1, v20
	s_waitcnt lgkmcnt(0)
	v_cmp_lt_f32_e64 s[0:1], v22, v21
	v_cndmask_b32_e64 v18, v18, v20, s[0:1]
	v_cndmask_b32_e64 v16, v23, v16, s[0:1]
	v_cmp_ge_i32_e64 s[0:1], v16, v18
	s_or_b64 s[4:5], s[0:1], s[4:5]
	s_andn2_b64 exec, exec, s[4:5]
	s_cbranch_execnz .LBB20_10
; %bb.11:
	s_or_b64 exec, exec, s[4:5]
.LBB20_12:
	s_or_b64 exec, exec, s[2:3]
	v_add_u32_e32 v15, v13, v15
	v_sub_u32_e32 v15, v15, v16
	v_lshl_add_u32 v17, v16, 2, v17
	v_lshl_add_u32 v18, v15, 2, v6
	ds_read_b32 v17, v17
	ds_read_b32 v18, v18
	v_add_u32_e32 v12, v16, v12
	v_cmp_le_i32_e64 s[2:3], v13, v12
	v_cmp_gt_i32_e64 s[0:1], v14, v15
	s_waitcnt lgkmcnt(0)
	v_cmp_lt_f32_e64 s[4:5], v18, v17
	s_or_b64 s[2:3], s[2:3], s[4:5]
	s_and_b64 s[0:1], s[0:1], s[2:3]
	v_cndmask_b32_e64 v12, v12, v15, s[0:1]
	; wave barrier
	ds_write_b8 v9, v11
	v_add_u32_e32 v11, v6, v12
	v_and_b32_e32 v12, 8, v10
	v_and_b32_e32 v10, 7, v10
	v_min_i32_e32 v14, v7, v10
	v_min_i32_e32 v10, v7, v12
	v_add_u32_e32 v12, 4, v10
	v_cndmask_b32_e64 v13, v17, v18, s[0:1]
	v_min_i32_e32 v12, v7, v12
	; wave barrier
	ds_read_u8 v11, v11
	; wave barrier
	ds_write_b32 v8, v13
	v_add_u32_e32 v13, 4, v12
	v_min_i32_e32 v13, v7, v13
	v_sub_u32_e32 v15, v13, v12
	v_sub_u32_e32 v17, v12, v10
	v_sub_u32_e32 v18, v14, v15
	v_cmp_ge_i32_e64 s[0:1], v14, v15
	v_cndmask_b32_e64 v15, 0, v18, s[0:1]
	v_min_i32_e32 v17, v14, v17
	v_lshl_add_u32 v16, v10, 2, v6
	v_cmp_lt_i32_e64 s[0:1], v15, v17
	; wave barrier
	s_and_saveexec_b64 s[2:3], s[0:1]
	s_cbranch_execz .LBB20_16
; %bb.13:
	v_lshlrev_b32_e32 v18, 2, v12
	v_lshlrev_b32_e32 v19, 2, v14
	v_add3_u32 v18, v6, v18, v19
	s_mov_b64 s[4:5], 0
.LBB20_14:                              ; =>This Inner Loop Header: Depth=1
	v_sub_u32_e32 v19, v17, v15
	v_lshrrev_b32_e32 v20, 31, v19
	v_add_u32_e32 v19, v19, v20
	v_ashrrev_i32_e32 v19, 1, v19
	v_add_u32_e32 v19, v19, v15
	v_not_b32_e32 v21, v19
	v_lshl_add_u32 v20, v19, 2, v16
	v_lshl_add_u32 v21, v21, 2, v18
	ds_read_b32 v20, v20
	ds_read_b32 v21, v21
	v_add_u32_e32 v22, 1, v19
	s_waitcnt lgkmcnt(0)
	v_cmp_lt_f32_e64 s[0:1], v21, v20
	v_cndmask_b32_e64 v17, v17, v19, s[0:1]
	v_cndmask_b32_e64 v15, v22, v15, s[0:1]
	v_cmp_ge_i32_e64 s[0:1], v15, v17
	s_or_b64 s[4:5], s[0:1], s[4:5]
	s_andn2_b64 exec, exec, s[4:5]
	s_cbranch_execnz .LBB20_14
; %bb.15:
	s_or_b64 exec, exec, s[4:5]
.LBB20_16:
	s_or_b64 exec, exec, s[2:3]
	v_add_u32_e32 v14, v12, v14
	v_sub_u32_e32 v14, v14, v15
	v_lshl_add_u32 v16, v15, 2, v16
	v_lshl_add_u32 v17, v14, 2, v6
	ds_read_b32 v16, v16
	ds_read_b32 v17, v17
	v_add_u32_e32 v10, v15, v10
	v_cmp_le_i32_e64 s[2:3], v12, v10
	v_cmp_gt_i32_e64 s[0:1], v13, v14
	s_waitcnt lgkmcnt(0)
	v_cmp_lt_f32_e64 s[4:5], v17, v16
	s_or_b64 s[2:3], s[2:3], s[4:5]
	s_and_b64 s[0:1], s[0:1], s[2:3]
	v_cndmask_b32_e64 v10, v10, v14, s[0:1]
	v_cndmask_b32_e64 v12, v16, v17, s[0:1]
	v_add_u32_e32 v10, v6, v10
	; wave barrier
	ds_write_b8 v9, v11
	; wave barrier
	ds_read_u8 v11, v10
	; wave barrier
	ds_write_b32 v8, v12
	v_min_i32_e32 v8, 0, v7
	v_add_u32_e32 v10, 8, v8
	v_min_i32_e32 v10, v7, v10
	v_add_u32_e32 v12, 8, v10
	v_min_i32_e32 v13, v7, v2
	v_min_i32_e32 v7, v7, v12
	v_sub_u32_e32 v12, v7, v10
	v_sub_u32_e32 v15, v10, v8
	;; [unrolled: 1-line block ×3, first 2 shown]
	v_cmp_ge_i32_e64 s[0:1], v13, v12
	v_cndmask_b32_e64 v12, 0, v16, s[0:1]
	v_min_i32_e32 v15, v13, v15
	v_lshl_add_u32 v14, v8, 2, v6
	v_cmp_lt_i32_e64 s[0:1], v12, v15
	; wave barrier
	s_and_saveexec_b64 s[2:3], s[0:1]
	s_cbranch_execz .LBB20_20
; %bb.17:
	v_lshlrev_b32_e32 v16, 2, v10
	v_lshlrev_b32_e32 v17, 2, v13
	v_add3_u32 v16, v6, v16, v17
	s_mov_b64 s[4:5], 0
.LBB20_18:                              ; =>This Inner Loop Header: Depth=1
	v_sub_u32_e32 v17, v15, v12
	v_lshrrev_b32_e32 v18, 31, v17
	v_add_u32_e32 v17, v17, v18
	v_ashrrev_i32_e32 v17, 1, v17
	v_add_u32_e32 v17, v17, v12
	v_not_b32_e32 v19, v17
	v_lshl_add_u32 v18, v17, 2, v14
	v_lshl_add_u32 v19, v19, 2, v16
	ds_read_b32 v18, v18
	ds_read_b32 v19, v19
	v_add_u32_e32 v20, 1, v17
	s_waitcnt lgkmcnt(0)
	v_cmp_lt_f32_e64 s[0:1], v19, v18
	v_cndmask_b32_e64 v15, v15, v17, s[0:1]
	v_cndmask_b32_e64 v12, v20, v12, s[0:1]
	v_cmp_ge_i32_e64 s[0:1], v12, v15
	s_or_b64 s[4:5], s[0:1], s[4:5]
	s_andn2_b64 exec, exec, s[4:5]
	s_cbranch_execnz .LBB20_18
; %bb.19:
	s_or_b64 exec, exec, s[4:5]
.LBB20_20:
	s_or_b64 exec, exec, s[2:3]
	v_add_u32_e32 v13, v10, v13
	v_sub_u32_e32 v15, v13, v12
	v_lshl_add_u32 v13, v12, 2, v14
	v_lshl_add_u32 v14, v15, 2, v6
	ds_read_b32 v13, v13
	ds_read_b32 v14, v14
	; wave barrier
	s_waitcnt lgkmcnt(3)
	ds_write_b8 v9, v11
	; wave barrier
	s_and_saveexec_b64 s[0:1], vcc
	s_cbranch_execz .LBB20_22
; %bb.21:
	v_add_u32_e32 v8, v12, v8
	v_cmp_le_i32_e64 s[0:1], v10, v8
	s_waitcnt lgkmcnt(1)
	v_cmp_lt_f32_e64 s[2:3], v14, v13
	v_cmp_gt_i32_e32 vcc, v7, v15
	s_or_b64 s[0:1], s[0:1], s[2:3]
	s_and_b64 vcc, vcc, s[0:1]
	v_cndmask_b32_e32 v7, v8, v15, vcc
	v_add_u32_e32 v6, v6, v7
	ds_read_u8 v8, v6
	v_add_co_u32_e64 v6, s[0:1], v1, v4
	v_addc_co_u32_e64 v7, s[0:1], 0, v3, s[0:1]
	v_cndmask_b32_e32 v1, v13, v14, vcc
	v_add_co_u32_e32 v0, vcc, v0, v2
	global_store_dword v[6:7], v1, off
	v_addc_co_u32_e32 v1, vcc, 0, v5, vcc
	s_waitcnt lgkmcnt(0)
	global_store_byte v[0:1], v8, off
.LBB20_22:
	s_endpgm
	.section	.rodata,"a",@progbits
	.p2align	6, 0x0
	.amdhsa_kernel _Z26sort_keys_values_segmentedILj64ELj16ELj1ELb0EfcN10test_utils4lessEEvPT3_PT4_PKjT5_
		.amdhsa_group_segment_fixed_size 272
		.amdhsa_private_segment_fixed_size 0
		.amdhsa_kernarg_size 28
		.amdhsa_user_sgpr_count 6
		.amdhsa_user_sgpr_private_segment_buffer 1
		.amdhsa_user_sgpr_dispatch_ptr 0
		.amdhsa_user_sgpr_queue_ptr 0
		.amdhsa_user_sgpr_kernarg_segment_ptr 1
		.amdhsa_user_sgpr_dispatch_id 0
		.amdhsa_user_sgpr_flat_scratch_init 0
		.amdhsa_user_sgpr_kernarg_preload_length 0
		.amdhsa_user_sgpr_kernarg_preload_offset 0
		.amdhsa_user_sgpr_private_segment_size 0
		.amdhsa_uses_dynamic_stack 0
		.amdhsa_system_sgpr_private_segment_wavefront_offset 0
		.amdhsa_system_sgpr_workgroup_id_x 1
		.amdhsa_system_sgpr_workgroup_id_y 0
		.amdhsa_system_sgpr_workgroup_id_z 0
		.amdhsa_system_sgpr_workgroup_info 0
		.amdhsa_system_vgpr_workitem_id 0
		.amdhsa_next_free_vgpr 24
		.amdhsa_next_free_sgpr 7
		.amdhsa_accum_offset 24
		.amdhsa_reserve_vcc 1
		.amdhsa_reserve_flat_scratch 0
		.amdhsa_float_round_mode_32 0
		.amdhsa_float_round_mode_16_64 0
		.amdhsa_float_denorm_mode_32 3
		.amdhsa_float_denorm_mode_16_64 3
		.amdhsa_dx10_clamp 1
		.amdhsa_ieee_mode 1
		.amdhsa_fp16_overflow 0
		.amdhsa_tg_split 0
		.amdhsa_exception_fp_ieee_invalid_op 0
		.amdhsa_exception_fp_denorm_src 0
		.amdhsa_exception_fp_ieee_div_zero 0
		.amdhsa_exception_fp_ieee_overflow 0
		.amdhsa_exception_fp_ieee_underflow 0
		.amdhsa_exception_fp_ieee_inexact 0
		.amdhsa_exception_int_div_zero 0
	.end_amdhsa_kernel
	.section	.text._Z26sort_keys_values_segmentedILj64ELj16ELj1ELb0EfcN10test_utils4lessEEvPT3_PT4_PKjT5_,"axG",@progbits,_Z26sort_keys_values_segmentedILj64ELj16ELj1ELb0EfcN10test_utils4lessEEvPT3_PT4_PKjT5_,comdat
.Lfunc_end20:
	.size	_Z26sort_keys_values_segmentedILj64ELj16ELj1ELb0EfcN10test_utils4lessEEvPT3_PT4_PKjT5_, .Lfunc_end20-_Z26sort_keys_values_segmentedILj64ELj16ELj1ELb0EfcN10test_utils4lessEEvPT3_PT4_PKjT5_
                                        ; -- End function
	.section	.AMDGPU.csdata,"",@progbits
; Kernel info:
; codeLenInByte = 1680
; NumSgprs: 11
; NumVgprs: 24
; NumAgprs: 0
; TotalNumVgprs: 24
; ScratchSize: 0
; MemoryBound: 0
; FloatMode: 240
; IeeeMode: 1
; LDSByteSize: 272 bytes/workgroup (compile time only)
; SGPRBlocks: 1
; VGPRBlocks: 2
; NumSGPRsForWavesPerEU: 11
; NumVGPRsForWavesPerEU: 24
; AccumOffset: 24
; Occupancy: 8
; WaveLimiterHint : 0
; COMPUTE_PGM_RSRC2:SCRATCH_EN: 0
; COMPUTE_PGM_RSRC2:USER_SGPR: 6
; COMPUTE_PGM_RSRC2:TRAP_HANDLER: 0
; COMPUTE_PGM_RSRC2:TGID_X_EN: 1
; COMPUTE_PGM_RSRC2:TGID_Y_EN: 0
; COMPUTE_PGM_RSRC2:TGID_Z_EN: 0
; COMPUTE_PGM_RSRC2:TIDIG_COMP_CNT: 0
; COMPUTE_PGM_RSRC3_GFX90A:ACCUM_OFFSET: 5
; COMPUTE_PGM_RSRC3_GFX90A:TG_SPLIT: 0
	.section	.text._Z26sort_keys_values_segmentedILj256ELj2ELj1ELb0EjiN10test_utils4lessEEvPT3_PT4_PKjT5_,"axG",@progbits,_Z26sort_keys_values_segmentedILj256ELj2ELj1ELb0EjiN10test_utils4lessEEvPT3_PT4_PKjT5_,comdat
	.protected	_Z26sort_keys_values_segmentedILj256ELj2ELj1ELb0EjiN10test_utils4lessEEvPT3_PT4_PKjT5_ ; -- Begin function _Z26sort_keys_values_segmentedILj256ELj2ELj1ELb0EjiN10test_utils4lessEEvPT3_PT4_PKjT5_
	.globl	_Z26sort_keys_values_segmentedILj256ELj2ELj1ELb0EjiN10test_utils4lessEEvPT3_PT4_PKjT5_
	.p2align	8
	.type	_Z26sort_keys_values_segmentedILj256ELj2ELj1ELb0EjiN10test_utils4lessEEvPT3_PT4_PKjT5_,@function
_Z26sort_keys_values_segmentedILj256ELj2ELj1ELb0EjiN10test_utils4lessEEvPT3_PT4_PKjT5_: ; @_Z26sort_keys_values_segmentedILj256ELj2ELj1ELb0EjiN10test_utils4lessEEvPT3_PT4_PKjT5_
; %bb.0:
	s_load_dwordx2 s[0:1], s[4:5], 0x10
	v_lshrrev_b32_e32 v9, 1, v0
	v_lshl_or_b32 v0, s6, 7, v9
	v_mov_b32_e32 v1, 0
	v_lshlrev_b64 v[2:3], 2, v[0:1]
	s_waitcnt lgkmcnt(0)
	v_mov_b32_e32 v4, s1
	v_add_co_u32_e32 v2, vcc, s0, v2
	v_addc_co_u32_e32 v3, vcc, v4, v3, vcc
	global_load_dword v10, v[2:3], off
	s_load_dwordx4 s[0:3], s[4:5], 0x0
	v_mbcnt_lo_u32_b32 v2, -1, 0
	v_lshlrev_b32_e32 v0, 1, v0
	v_mbcnt_hi_u32_b32 v2, -1, v2
	v_lshlrev_b64 v[0:1], 2, v[0:1]
	v_and_b32_e32 v7, 1, v2
	s_waitcnt lgkmcnt(0)
	v_mov_b32_e32 v2, s1
	v_add_co_u32_e32 v3, vcc, s0, v0
	v_addc_co_u32_e32 v4, vcc, v2, v1, vcc
	v_lshlrev_b32_e32 v2, 2, v7
                                        ; implicit-def: $vgpr8
	s_waitcnt vmcnt(0)
	v_cmp_lt_u32_e32 vcc, v7, v10
	s_and_saveexec_b64 s[4:5], vcc
	s_cbranch_execz .LBB21_2
; %bb.1:
	v_add_co_u32_e64 v12, s[0:1], v3, v2
	v_addc_co_u32_e64 v13, s[0:1], 0, v4, s[0:1]
	global_load_dword v8, v[12:13], off
.LBB21_2:
	s_or_b64 exec, exec, s[4:5]
	v_mov_b32_e32 v5, s3
	v_add_co_u32_e64 v0, s[0:1], s2, v0
	v_addc_co_u32_e64 v1, s[0:1], v5, v1, s[0:1]
                                        ; implicit-def: $vgpr6
	s_and_saveexec_b64 s[2:3], vcc
	s_cbranch_execz .LBB21_4
; %bb.3:
	v_add_co_u32_e64 v12, s[0:1], v0, v2
	v_addc_co_u32_e64 v13, s[0:1], 0, v1, s[0:1]
	global_load_dword v6, v[12:13], off
.LBB21_4:
	s_or_b64 exec, exec, s[2:3]
	v_mad_u32_u24 v11, v9, 12, v2
	v_min_i32_e32 v12, v10, v7
	v_min_i32_e32 v7, 0, v10
	; wave barrier
	s_waitcnt vmcnt(0)
	ds_write_b32 v11, v8
	v_add_u32_e32 v8, 1, v7
	v_min_i32_e32 v8, v10, v8
	v_add_u32_e32 v13, 1, v8
	v_min_i32_e32 v10, v10, v13
	v_sub_u32_e32 v15, v10, v8
	v_lshlrev_b32_e32 v13, 2, v7
	v_mul_u32_u24_e32 v5, 12, v9
	v_sub_u32_e32 v14, v8, v7
	v_mad_u32_u24 v13, v9, 12, v13
	v_sub_u32_e32 v9, v12, v15
	v_cmp_ge_i32_e64 s[0:1], v12, v15
	v_cndmask_b32_e64 v9, 0, v9, s[0:1]
	v_min_i32_e32 v14, v12, v14
	v_cmp_lt_i32_e64 s[0:1], v9, v14
	; wave barrier
	s_and_saveexec_b64 s[2:3], s[0:1]
	s_cbranch_execz .LBB21_8
; %bb.5:
	v_lshlrev_b32_e32 v15, 2, v8
	v_lshlrev_b32_e32 v16, 2, v12
	v_add3_u32 v15, v5, v15, v16
	s_mov_b64 s[4:5], 0
.LBB21_6:                               ; =>This Inner Loop Header: Depth=1
	v_sub_u32_e32 v16, v14, v9
	v_lshrrev_b32_e32 v17, 31, v16
	v_add_u32_e32 v16, v16, v17
	v_ashrrev_i32_e32 v16, 1, v16
	v_add_u32_e32 v16, v16, v9
	v_not_b32_e32 v18, v16
	v_lshl_add_u32 v17, v16, 2, v13
	v_lshl_add_u32 v18, v18, 2, v15
	ds_read_b32 v17, v17
	ds_read_b32 v18, v18
	v_add_u32_e32 v19, 1, v16
	s_waitcnt lgkmcnt(0)
	v_cmp_lt_u32_e64 s[0:1], v18, v17
	v_cndmask_b32_e64 v14, v14, v16, s[0:1]
	v_cndmask_b32_e64 v9, v19, v9, s[0:1]
	v_cmp_ge_i32_e64 s[0:1], v9, v14
	s_or_b64 s[4:5], s[0:1], s[4:5]
	s_andn2_b64 exec, exec, s[4:5]
	s_cbranch_execnz .LBB21_6
; %bb.7:
	s_or_b64 exec, exec, s[4:5]
.LBB21_8:
	s_or_b64 exec, exec, s[2:3]
	v_add_u32_e32 v12, v8, v12
	v_sub_u32_e32 v14, v12, v9
	v_lshl_add_u32 v12, v9, 2, v13
	v_lshl_add_u32 v13, v14, 2, v5
	ds_read_b32 v12, v12
	ds_read_b32 v13, v13
	; wave barrier
	ds_write_b32 v11, v6
	; wave barrier
	s_and_saveexec_b64 s[0:1], vcc
	s_cbranch_execz .LBB21_10
; %bb.9:
	v_add_u32_e32 v6, v9, v7
	v_cmp_le_i32_e64 s[0:1], v8, v6
	s_waitcnt lgkmcnt(1)
	v_cmp_lt_u32_e64 s[2:3], v13, v12
	v_cmp_gt_i32_e32 vcc, v10, v14
	s_or_b64 s[0:1], s[0:1], s[2:3]
	s_and_b64 vcc, vcc, s[0:1]
	v_cndmask_b32_e32 v6, v6, v14, vcc
	v_lshl_add_u32 v5, v6, 2, v5
	ds_read_b32 v5, v5
	v_add_co_u32_e64 v6, s[0:1], v3, v2
	v_cndmask_b32_e32 v3, v12, v13, vcc
	v_add_co_u32_e32 v0, vcc, v0, v2
	v_addc_co_u32_e64 v7, s[0:1], 0, v4, s[0:1]
	v_addc_co_u32_e32 v1, vcc, 0, v1, vcc
	global_store_dword v[6:7], v3, off
	s_waitcnt lgkmcnt(0)
	global_store_dword v[0:1], v5, off
.LBB21_10:
	s_endpgm
	.section	.rodata,"a",@progbits
	.p2align	6, 0x0
	.amdhsa_kernel _Z26sort_keys_values_segmentedILj256ELj2ELj1ELb0EjiN10test_utils4lessEEvPT3_PT4_PKjT5_
		.amdhsa_group_segment_fixed_size 1536
		.amdhsa_private_segment_fixed_size 0
		.amdhsa_kernarg_size 28
		.amdhsa_user_sgpr_count 6
		.amdhsa_user_sgpr_private_segment_buffer 1
		.amdhsa_user_sgpr_dispatch_ptr 0
		.amdhsa_user_sgpr_queue_ptr 0
		.amdhsa_user_sgpr_kernarg_segment_ptr 1
		.amdhsa_user_sgpr_dispatch_id 0
		.amdhsa_user_sgpr_flat_scratch_init 0
		.amdhsa_user_sgpr_kernarg_preload_length 0
		.amdhsa_user_sgpr_kernarg_preload_offset 0
		.amdhsa_user_sgpr_private_segment_size 0
		.amdhsa_uses_dynamic_stack 0
		.amdhsa_system_sgpr_private_segment_wavefront_offset 0
		.amdhsa_system_sgpr_workgroup_id_x 1
		.amdhsa_system_sgpr_workgroup_id_y 0
		.amdhsa_system_sgpr_workgroup_id_z 0
		.amdhsa_system_sgpr_workgroup_info 0
		.amdhsa_system_vgpr_workitem_id 0
		.amdhsa_next_free_vgpr 20
		.amdhsa_next_free_sgpr 7
		.amdhsa_accum_offset 20
		.amdhsa_reserve_vcc 1
		.amdhsa_reserve_flat_scratch 0
		.amdhsa_float_round_mode_32 0
		.amdhsa_float_round_mode_16_64 0
		.amdhsa_float_denorm_mode_32 3
		.amdhsa_float_denorm_mode_16_64 3
		.amdhsa_dx10_clamp 1
		.amdhsa_ieee_mode 1
		.amdhsa_fp16_overflow 0
		.amdhsa_tg_split 0
		.amdhsa_exception_fp_ieee_invalid_op 0
		.amdhsa_exception_fp_denorm_src 0
		.amdhsa_exception_fp_ieee_div_zero 0
		.amdhsa_exception_fp_ieee_overflow 0
		.amdhsa_exception_fp_ieee_underflow 0
		.amdhsa_exception_fp_ieee_inexact 0
		.amdhsa_exception_int_div_zero 0
	.end_amdhsa_kernel
	.section	.text._Z26sort_keys_values_segmentedILj256ELj2ELj1ELb0EjiN10test_utils4lessEEvPT3_PT4_PKjT5_,"axG",@progbits,_Z26sort_keys_values_segmentedILj256ELj2ELj1ELb0EjiN10test_utils4lessEEvPT3_PT4_PKjT5_,comdat
.Lfunc_end21:
	.size	_Z26sort_keys_values_segmentedILj256ELj2ELj1ELb0EjiN10test_utils4lessEEvPT3_PT4_PKjT5_, .Lfunc_end21-_Z26sort_keys_values_segmentedILj256ELj2ELj1ELb0EjiN10test_utils4lessEEvPT3_PT4_PKjT5_
                                        ; -- End function
	.section	.AMDGPU.csdata,"",@progbits
; Kernel info:
; codeLenInByte = 624
; NumSgprs: 11
; NumVgprs: 20
; NumAgprs: 0
; TotalNumVgprs: 20
; ScratchSize: 0
; MemoryBound: 0
; FloatMode: 240
; IeeeMode: 1
; LDSByteSize: 1536 bytes/workgroup (compile time only)
; SGPRBlocks: 1
; VGPRBlocks: 2
; NumSGPRsForWavesPerEU: 11
; NumVGPRsForWavesPerEU: 20
; AccumOffset: 20
; Occupancy: 8
; WaveLimiterHint : 0
; COMPUTE_PGM_RSRC2:SCRATCH_EN: 0
; COMPUTE_PGM_RSRC2:USER_SGPR: 6
; COMPUTE_PGM_RSRC2:TRAP_HANDLER: 0
; COMPUTE_PGM_RSRC2:TGID_X_EN: 1
; COMPUTE_PGM_RSRC2:TGID_Y_EN: 0
; COMPUTE_PGM_RSRC2:TGID_Z_EN: 0
; COMPUTE_PGM_RSRC2:TIDIG_COMP_CNT: 0
; COMPUTE_PGM_RSRC3_GFX90A:ACCUM_OFFSET: 4
; COMPUTE_PGM_RSRC3_GFX90A:TG_SPLIT: 0
	.section	.text._Z14sort_keys_fullILj256ELj32ELj7ELb0EiN10test_utils7greaterEEvPT3_T4_,"axG",@progbits,_Z14sort_keys_fullILj256ELj32ELj7ELb0EiN10test_utils7greaterEEvPT3_T4_,comdat
	.protected	_Z14sort_keys_fullILj256ELj32ELj7ELb0EiN10test_utils7greaterEEvPT3_T4_ ; -- Begin function _Z14sort_keys_fullILj256ELj32ELj7ELb0EiN10test_utils7greaterEEvPT3_T4_
	.globl	_Z14sort_keys_fullILj256ELj32ELj7ELb0EiN10test_utils7greaterEEvPT3_T4_
	.p2align	8
	.type	_Z14sort_keys_fullILj256ELj32ELj7ELb0EiN10test_utils7greaterEEvPT3_T4_,@function
_Z14sort_keys_fullILj256ELj32ELj7ELb0EiN10test_utils7greaterEEvPT3_T4_: ; @_Z14sort_keys_fullILj256ELj32ELj7ELb0EiN10test_utils7greaterEEvPT3_T4_
; %bb.0:
	s_load_dwordx2 s[0:1], s[4:5], 0x0
	s_mul_i32 s2, s6, 0x700
	s_mov_b32 s3, 0
	s_lshl_b64 s[2:3], s[2:3], 2
	v_mul_u32_u24_e32 v1, 7, v0
	s_waitcnt lgkmcnt(0)
	s_add_u32 s0, s0, s2
	s_addc_u32 s1, s1, s3
	v_lshlrev_b32_e32 v2, 2, v1
	global_load_dwordx4 v[12:15], v2, s[0:1]
	global_load_dwordx3 v[8:10], v2, s[0:1] offset:16
	v_mov_b32_e32 v3, s1
	v_add_co_u32_e32 v4, vcc, s0, v2
	v_addc_co_u32_e32 v5, vcc, 0, v3, vcc
	v_mbcnt_lo_u32_b32 v1, -1, 0
	v_mbcnt_hi_u32_b32 v6, -1, v1
	v_and_b32_e32 v1, 31, v6
	s_movk_i32 s4, 0x384
	v_lshrrev_b32_e32 v0, 5, v0
	; wave barrier
	v_mov_b32_e32 v11, 0
	s_waitcnt vmcnt(1)
	v_cmp_gt_i32_e32 vcc, v13, v12
	v_min_i32_e32 v7, v13, v12
	v_cmp_gt_i32_e64 s[0:1], v15, v14
	v_max_i32_e32 v18, v15, v14
	s_waitcnt vmcnt(0)
	v_cmp_gt_i32_e64 s[2:3], v9, v8
	v_min_i32_e32 v20, v9, v8
	v_cndmask_b32_e32 v2, v12, v13, vcc
	v_max_i32_e32 v3, v13, v12
	v_cndmask_b32_e64 v16, v15, v14, s[0:1]
	v_min_i32_e32 v17, v15, v14
	v_cndmask_b32_e64 v19, v9, v8, s[2:3]
	v_max_i32_e32 v21, v9, v8
	v_cndmask_b32_e32 v12, v13, v12, vcc
	v_cndmask_b32_e64 v13, v14, v15, s[0:1]
	v_cmp_gt_i32_e32 vcc, v10, v20
	v_cmp_gt_i32_e64 s[0:1], v18, v7
	v_cndmask_b32_e64 v8, v8, v9, s[2:3]
	v_min_i32_e32 v9, v18, v7
	v_max_i32_e32 v14, v18, v7
	v_max_i32_e32 v22, v21, v17
	v_cndmask_b32_e32 v23, v10, v20, vcc
	v_min_i32_e32 v24, v10, v20
	v_max_i32_e32 v20, v10, v20
	v_cndmask_b32_e64 v7, v13, v7, s[0:1]
	v_cndmask_b32_e64 v12, v12, v18, s[0:1]
	v_cmp_gt_i32_e64 s[0:1], v21, v17
	v_cndmask_b32_e32 v10, v19, v10, vcc
	v_cmp_gt_i32_e32 vcc, v18, v3
	v_min_i32_e32 v15, v21, v17
	v_cndmask_b32_e64 v13, v16, v21, s[0:1]
	v_cndmask_b32_e32 v2, v2, v14, vcc
	v_cndmask_b32_e32 v16, v3, v14, vcc
	;; [unrolled: 1-line block ×4, first 2 shown]
	v_cmp_gt_i32_e32 vcc, v22, v9
	v_cndmask_b32_e64 v8, v8, v17, s[0:1]
	v_min_i32_e32 v17, v22, v9
	v_max_i32_e32 v18, v22, v9
	v_cndmask_b32_e32 v9, v13, v9, vcc
	v_cndmask_b32_e32 v7, v7, v22, vcc
	v_cmp_gt_i32_e32 vcc, v20, v15
	v_min_i32_e32 v19, v20, v15
	v_max_i32_e32 v21, v20, v15
	v_cndmask_b32_e32 v10, v10, v15, vcc
	v_cndmask_b32_e32 v8, v8, v20, vcc
	v_max_i32_e32 v13, v18, v14
	v_cmp_lt_i32_e32 vcc, v15, v24
	v_cmp_gt_i32_e64 s[0:1], v18, v14
	v_min_i32_e32 v12, v18, v14
	v_max_i32_e32 v22, v21, v17
	v_cndmask_b32_e32 v15, v23, v19, vcc
	v_cndmask_b32_e32 v23, v24, v19, vcc
	;; [unrolled: 1-line block ×3, first 2 shown]
	v_cndmask_b32_e64 v7, v7, v14, s[0:1]
	v_cndmask_b32_e64 v3, v3, v18, s[0:1]
	v_cmp_gt_i32_e64 s[0:1], v21, v17
	v_cndmask_b32_e32 v10, v10, v24, vcc
	v_cmp_gt_i32_e32 vcc, v13, v16
	v_min_i32_e32 v20, v21, v17
	v_cndmask_b32_e64 v9, v9, v21, s[0:1]
	v_cndmask_b32_e32 v2, v2, v13, vcc
	v_cndmask_b32_e32 v3, v3, v16, vcc
	v_cmp_gt_i32_e32 vcc, v22, v12
	v_cndmask_b32_e64 v8, v8, v17, s[0:1]
	v_max_i32_e32 v14, v13, v16
	v_min_i32_e32 v13, v13, v16
	v_max_i32_e32 v18, v22, v12
	v_cndmask_b32_e32 v9, v9, v12, vcc
	v_cndmask_b32_e32 v7, v7, v22, vcc
	v_cmp_gt_i32_e32 vcc, v19, v20
	v_min_i32_e32 v17, v22, v12
	v_cndmask_b32_e32 v10, v10, v20, vcc
	v_cndmask_b32_e32 v8, v8, v19, vcc
	v_max_i32_e32 v16, v19, v20
	v_cmp_gt_i32_e32 vcc, v18, v13
	v_min_i32_e32 v12, v19, v20
	v_cndmask_b32_e32 v7, v7, v13, vcc
	v_cndmask_b32_e32 v3, v3, v18, vcc
	v_cmp_gt_i32_e32 vcc, v16, v17
	v_cndmask_b32_e32 v8, v8, v17, vcc
	v_cndmask_b32_e32 v9, v9, v16, vcc
	v_cmp_gt_i32_e32 vcc, v23, v12
	v_min_i32_e32 v19, v18, v13
	v_max_i32_e32 v13, v18, v13
	v_cndmask_b32_e32 v15, v15, v12, vcc
	v_cndmask_b32_e32 v10, v10, v23, vcc
	v_cmp_gt_i32_e32 vcc, v18, v14
	v_min_i32_e32 v20, v16, v17
	v_max_i32_e32 v16, v16, v17
	v_cndmask_b32_e32 v13, v2, v13, vcc
	v_mul_u32_u24_e32 v2, 7, v1
	v_max_i32_e32 v12, v23, v12
	v_cndmask_b32_e32 v14, v3, v14, vcc
	v_cmp_gt_i32_e32 vcc, v16, v19
	v_lshlrev_b32_e32 v3, 2, v2
	v_cndmask_b32_e32 v9, v9, v19, vcc
	v_cndmask_b32_e32 v7, v7, v16, vcc
	v_cmp_gt_i32_e32 vcc, v12, v20
	v_mad_u32_u24 v3, v0, s4, v3
	v_cndmask_b32_e32 v10, v10, v20, vcc
	v_cndmask_b32_e32 v8, v8, v12, vcc
	ds_write2_b32 v3, v13, v14 offset1:1
	ds_write2_b32 v3, v7, v9 offset0:2 offset1:3
	ds_write2_b32 v3, v8, v10 offset0:4 offset1:5
	ds_write_b32 v3, v15 offset:24
	v_and_b32_e32 v7, 30, v6
	v_mul_u32_u24_e32 v14, 7, v7
	v_and_b32_e32 v7, 1, v6
	v_cmp_eq_u32_e32 vcc, 1, v7
	v_lshlrev_b32_e32 v7, 2, v14
	v_mad_u32_u24 v9, v0, s4, v7
	; wave barrier
	s_and_saveexec_b64 s[2:3], vcc
	s_cbranch_execz .LBB22_4
; %bb.1:
	v_add_u32_e32 v7, 56, v9
	s_mov_b64 s[4:5], 0
	v_mov_b32_e32 v11, 0
	v_mov_b32_e32 v8, 7
.LBB22_2:                               ; =>This Inner Loop Header: Depth=1
	v_sub_u32_e32 v10, v8, v11
	v_lshrrev_b32_e32 v12, 31, v10
	v_add_u32_e32 v10, v10, v12
	v_ashrrev_i32_e32 v10, 1, v10
	v_add_u32_e32 v10, v10, v11
	v_not_b32_e32 v13, v10
	v_lshl_add_u32 v12, v10, 2, v9
	v_lshl_add_u32 v13, v13, 2, v7
	ds_read_b32 v12, v12
	ds_read_b32 v13, v13
	v_add_u32_e32 v15, 1, v10
	s_waitcnt lgkmcnt(0)
	v_cmp_gt_i32_e64 s[0:1], v13, v12
	v_cndmask_b32_e64 v8, v8, v10, s[0:1]
	v_cndmask_b32_e64 v11, v15, v11, s[0:1]
	v_cmp_ge_i32_e64 s[0:1], v11, v8
	s_or_b64 s[4:5], s[0:1], s[4:5]
	s_andn2_b64 exec, exec, s[4:5]
	s_cbranch_execnz .LBB22_2
; %bb.3:
	s_or_b64 exec, exec, s[4:5]
.LBB22_4:
	s_or_b64 exec, exec, s[2:3]
	v_cndmask_b32_e64 v12, 0, 7, vcc
	v_lshl_add_u32 v17, v11, 2, v9
	v_add_u32_e32 v9, v14, v12
	v_mul_u32_u24_e32 v0, 0x384, v0
	v_sub_u32_e32 v9, v9, v11
	v_lshl_add_u32 v16, v9, 2, v0
	ds_read_b32 v9, v17
	ds_read_b32 v10, v16 offset:28
	v_add_u32_e32 v7, 7, v14
	v_add_u32_e32 v12, v7, v12
	v_add_u32_e32 v8, 14, v14
	v_sub_u32_e32 v15, v12, v11
	v_cmp_lt_i32_e64 s[0:1], 6, v11
	s_waitcnt lgkmcnt(0)
	v_cmp_gt_i32_e64 s[2:3], v10, v9
	v_cmp_gt_i32_e32 vcc, v8, v15
	s_or_b64 s[0:1], s[0:1], s[2:3]
	s_and_b64 vcc, vcc, s[0:1]
	s_xor_b64 s[0:1], vcc, -1
                                        ; implicit-def: $vgpr12
                                        ; implicit-def: $vgpr13
	s_and_saveexec_b64 s[2:3], s[0:1]
	s_xor_b64 s[0:1], exec, s[2:3]
	s_cbranch_execz .LBB22_6
; %bb.5:
	ds_read_b32 v13, v17 offset:4
	v_mov_b32_e32 v12, v10
                                        ; implicit-def: $vgpr16
.LBB22_6:
	s_andn2_saveexec_b64 s[0:1], s[0:1]
	s_cbranch_execz .LBB22_8
; %bb.7:
	ds_read_b32 v12, v16 offset:32
	s_waitcnt lgkmcnt(1)
	v_mov_b32_e32 v13, v9
.LBB22_8:
	s_or_b64 exec, exec, s[0:1]
	v_add_u32_e32 v11, v11, v14
	v_add_u32_e32 v16, 1, v11
	;; [unrolled: 1-line block ×3, first 2 shown]
	v_cndmask_b32_e32 v16, v16, v11, vcc
	v_cndmask_b32_e32 v15, v15, v14, vcc
	v_cmp_ge_i32_e64 s[2:3], v16, v7
	s_waitcnt lgkmcnt(0)
	v_cmp_gt_i32_e64 s[4:5], v12, v13
	v_cmp_lt_i32_e64 s[0:1], v15, v8
	s_or_b64 s[2:3], s[2:3], s[4:5]
	s_and_b64 s[0:1], s[0:1], s[2:3]
	s_xor_b64 s[2:3], s[0:1], -1
                                        ; implicit-def: $vgpr11
	s_and_saveexec_b64 s[4:5], s[2:3]
	s_xor_b64 s[2:3], exec, s[4:5]
	s_cbranch_execz .LBB22_10
; %bb.9:
	v_lshl_add_u32 v11, v16, 2, v0
	ds_read_b32 v11, v11 offset:4
.LBB22_10:
	s_or_saveexec_b64 s[2:3], s[2:3]
	v_mov_b32_e32 v14, v12
	s_xor_b64 exec, exec, s[2:3]
	s_cbranch_execz .LBB22_12
; %bb.11:
	s_waitcnt lgkmcnt(0)
	v_lshl_add_u32 v11, v15, 2, v0
	ds_read_b32 v14, v11 offset:4
	v_mov_b32_e32 v11, v13
.LBB22_12:
	s_or_b64 exec, exec, s[2:3]
	v_add_u32_e32 v18, 1, v16
	v_add_u32_e32 v17, 1, v15
	v_cndmask_b32_e64 v18, v18, v16, s[0:1]
	v_cndmask_b32_e64 v17, v15, v17, s[0:1]
	v_cmp_ge_i32_e64 s[4:5], v18, v7
	s_waitcnt lgkmcnt(0)
	v_cmp_gt_i32_e64 s[6:7], v14, v11
	v_cmp_lt_i32_e64 s[2:3], v17, v8
	s_or_b64 s[4:5], s[4:5], s[6:7]
	s_and_b64 s[2:3], s[2:3], s[4:5]
	s_xor_b64 s[4:5], s[2:3], -1
                                        ; implicit-def: $vgpr15
	s_and_saveexec_b64 s[6:7], s[4:5]
	s_xor_b64 s[4:5], exec, s[6:7]
	s_cbranch_execz .LBB22_14
; %bb.13:
	v_lshl_add_u32 v15, v18, 2, v0
	ds_read_b32 v15, v15 offset:4
.LBB22_14:
	s_or_saveexec_b64 s[4:5], s[4:5]
	v_mov_b32_e32 v16, v14
	s_xor_b64 exec, exec, s[4:5]
	s_cbranch_execz .LBB22_16
; %bb.15:
	s_waitcnt lgkmcnt(0)
	v_lshl_add_u32 v15, v17, 2, v0
	ds_read_b32 v16, v15 offset:4
	v_mov_b32_e32 v15, v11
.LBB22_16:
	s_or_b64 exec, exec, s[4:5]
	v_add_u32_e32 v20, 1, v18
	v_add_u32_e32 v19, 1, v17
	v_cndmask_b32_e64 v20, v20, v18, s[2:3]
	v_cndmask_b32_e64 v19, v17, v19, s[2:3]
	v_cmp_ge_i32_e64 s[6:7], v20, v7
	s_waitcnt lgkmcnt(0)
	v_cmp_gt_i32_e64 s[8:9], v16, v15
	v_cmp_lt_i32_e64 s[4:5], v19, v8
	s_or_b64 s[6:7], s[6:7], s[8:9]
	s_and_b64 s[4:5], s[4:5], s[6:7]
	s_xor_b64 s[6:7], s[4:5], -1
                                        ; implicit-def: $vgpr17
	s_and_saveexec_b64 s[8:9], s[6:7]
	s_xor_b64 s[6:7], exec, s[8:9]
	s_cbranch_execz .LBB22_18
; %bb.17:
	v_lshl_add_u32 v17, v20, 2, v0
	ds_read_b32 v17, v17 offset:4
.LBB22_18:
	s_or_saveexec_b64 s[6:7], s[6:7]
	v_mov_b32_e32 v18, v16
	s_xor_b64 exec, exec, s[6:7]
	s_cbranch_execz .LBB22_20
; %bb.19:
	s_waitcnt lgkmcnt(0)
	v_lshl_add_u32 v17, v19, 2, v0
	ds_read_b32 v18, v17 offset:4
	v_mov_b32_e32 v17, v15
.LBB22_20:
	s_or_b64 exec, exec, s[6:7]
	v_add_u32_e32 v22, 1, v20
	v_add_u32_e32 v21, 1, v19
	v_cndmask_b32_e64 v22, v22, v20, s[4:5]
	v_cndmask_b32_e64 v21, v19, v21, s[4:5]
	v_cmp_ge_i32_e64 s[8:9], v22, v7
	s_waitcnt lgkmcnt(0)
	v_cmp_gt_i32_e64 s[10:11], v18, v17
	v_cmp_lt_i32_e64 s[6:7], v21, v8
	s_or_b64 s[8:9], s[8:9], s[10:11]
	s_and_b64 s[6:7], s[6:7], s[8:9]
	s_xor_b64 s[8:9], s[6:7], -1
                                        ; implicit-def: $vgpr19
	s_and_saveexec_b64 s[10:11], s[8:9]
	s_xor_b64 s[8:9], exec, s[10:11]
	s_cbranch_execz .LBB22_22
; %bb.21:
	v_lshl_add_u32 v19, v22, 2, v0
	ds_read_b32 v19, v19 offset:4
.LBB22_22:
	s_or_saveexec_b64 s[8:9], s[8:9]
	v_mov_b32_e32 v20, v18
	s_xor_b64 exec, exec, s[8:9]
	s_cbranch_execz .LBB22_24
; %bb.23:
	s_waitcnt lgkmcnt(0)
	v_lshl_add_u32 v19, v21, 2, v0
	ds_read_b32 v20, v19 offset:4
	v_mov_b32_e32 v19, v17
.LBB22_24:
	s_or_b64 exec, exec, s[8:9]
	v_add_u32_e32 v24, 1, v22
	v_add_u32_e32 v23, 1, v21
	v_cndmask_b32_e64 v22, v24, v22, s[6:7]
	v_cndmask_b32_e64 v21, v21, v23, s[6:7]
	v_cmp_ge_i32_e64 s[10:11], v22, v7
	s_waitcnt lgkmcnt(0)
	v_cmp_gt_i32_e64 s[12:13], v20, v19
	v_cmp_lt_i32_e64 s[8:9], v21, v8
	s_or_b64 s[10:11], s[10:11], s[12:13]
	s_and_b64 s[8:9], s[8:9], s[10:11]
	s_xor_b64 s[10:11], s[8:9], -1
                                        ; implicit-def: $vgpr23
	s_and_saveexec_b64 s[12:13], s[10:11]
	s_xor_b64 s[10:11], exec, s[12:13]
	s_cbranch_execz .LBB22_26
; %bb.25:
	v_lshl_add_u32 v23, v22, 2, v0
	ds_read_b32 v23, v23 offset:4
.LBB22_26:
	s_or_saveexec_b64 s[10:11], s[10:11]
	v_mov_b32_e32 v24, v20
	s_xor_b64 exec, exec, s[10:11]
	s_cbranch_execz .LBB22_28
; %bb.27:
	s_waitcnt lgkmcnt(0)
	v_lshl_add_u32 v23, v21, 2, v0
	ds_read_b32 v24, v23 offset:4
	v_mov_b32_e32 v23, v19
.LBB22_28:
	s_or_b64 exec, exec, s[10:11]
	v_cndmask_b32_e64 v19, v19, v20, s[8:9]
	v_add_u32_e32 v20, 1, v21
	v_add_u32_e32 v25, 1, v22
	v_cndmask_b32_e64 v20, v21, v20, s[8:9]
	v_cndmask_b32_e64 v21, v25, v22, s[8:9]
	;; [unrolled: 1-line block ×4, first 2 shown]
	v_cmp_ge_i32_e64 s[0:1], v21, v7
	s_waitcnt lgkmcnt(0)
	v_cmp_gt_i32_e64 s[2:3], v24, v23
	v_cndmask_b32_e32 v9, v9, v10, vcc
	v_cmp_lt_i32_e32 vcc, v20, v8
	s_or_b64 s[0:1], s[0:1], s[2:3]
	s_and_b64 vcc, vcc, s[0:1]
	v_cndmask_b32_e32 v7, v23, v24, vcc
	v_cndmask_b32_e64 v17, v17, v18, s[6:7]
	v_cndmask_b32_e64 v15, v15, v16, s[4:5]
	; wave barrier
	ds_write2_b32 v3, v9, v12 offset1:1
	ds_write2_b32 v3, v11, v15 offset0:2 offset1:3
	ds_write2_b32 v3, v17, v19 offset0:4 offset1:5
	ds_write_b32 v3, v7 offset:24
	v_and_b32_e32 v7, 28, v6
	v_mul_u32_u24_e32 v13, 7, v7
	v_and_b32_e32 v7, 3, v6
	v_mul_u32_u24_e32 v11, 7, v7
	v_mad_u32_u24 v8, v7, 7, -14
	v_cmp_lt_u32_e32 vcc, 1, v7
	v_cndmask_b32_e32 v14, 0, v8, vcc
	v_min_u32_e32 v7, 14, v11
	v_lshl_add_u32 v9, v13, 2, v0
	v_cmp_lt_i32_e32 vcc, v14, v7
	; wave barrier
	s_and_saveexec_b64 s[0:1], vcc
	s_cbranch_execz .LBB22_32
; %bb.29:
	v_lshlrev_b32_e32 v8, 2, v11
	v_add3_u32 v8, v9, v8, 56
	s_mov_b64 s[2:3], 0
.LBB22_30:                              ; =>This Inner Loop Header: Depth=1
	v_sub_u32_e32 v10, v7, v14
	v_lshrrev_b32_e32 v12, 31, v10
	v_add_u32_e32 v10, v10, v12
	v_ashrrev_i32_e32 v10, 1, v10
	v_add_u32_e32 v10, v10, v14
	v_not_b32_e32 v15, v10
	v_lshl_add_u32 v12, v10, 2, v9
	v_lshl_add_u32 v15, v15, 2, v8
	ds_read_b32 v12, v12
	ds_read_b32 v15, v15
	v_add_u32_e32 v16, 1, v10
	s_waitcnt lgkmcnt(0)
	v_cmp_gt_i32_e32 vcc, v15, v12
	v_cndmask_b32_e32 v7, v7, v10, vcc
	v_cndmask_b32_e32 v14, v16, v14, vcc
	v_cmp_ge_i32_e32 vcc, v14, v7
	s_or_b64 s[2:3], vcc, s[2:3]
	s_andn2_b64 exec, exec, s[2:3]
	s_cbranch_execnz .LBB22_30
; %bb.31:
	s_or_b64 exec, exec, s[2:3]
.LBB22_32:
	s_or_b64 exec, exec, s[0:1]
	v_lshl_add_u32 v17, v14, 2, v9
	v_add_u32_e32 v9, v13, v11
	v_sub_u32_e32 v9, v9, v14
	v_lshl_add_u32 v16, v9, 2, v0
	ds_read_b32 v9, v17
	ds_read_b32 v10, v16 offset:56
	v_add_u32_e32 v7, 14, v13
	v_add_u32_e32 v11, v7, v11
	;; [unrolled: 1-line block ×3, first 2 shown]
	v_sub_u32_e32 v15, v11, v14
	v_cmp_lt_i32_e64 s[0:1], 13, v14
	s_waitcnt lgkmcnt(0)
	v_cmp_gt_i32_e64 s[2:3], v10, v9
	v_cmp_gt_i32_e32 vcc, v8, v15
	s_or_b64 s[0:1], s[0:1], s[2:3]
	s_and_b64 vcc, vcc, s[0:1]
	s_xor_b64 s[0:1], vcc, -1
                                        ; implicit-def: $vgpr11
                                        ; implicit-def: $vgpr12
	s_and_saveexec_b64 s[2:3], s[0:1]
	s_xor_b64 s[0:1], exec, s[2:3]
	s_cbranch_execz .LBB22_34
; %bb.33:
	ds_read_b32 v12, v17 offset:4
	v_mov_b32_e32 v11, v10
                                        ; implicit-def: $vgpr16
.LBB22_34:
	s_andn2_saveexec_b64 s[0:1], s[0:1]
	s_cbranch_execz .LBB22_36
; %bb.35:
	ds_read_b32 v11, v16 offset:60
	s_waitcnt lgkmcnt(1)
	v_mov_b32_e32 v12, v9
.LBB22_36:
	s_or_b64 exec, exec, s[0:1]
	v_add_u32_e32 v13, v14, v13
	v_add_u32_e32 v16, 1, v13
	;; [unrolled: 1-line block ×3, first 2 shown]
	v_cndmask_b32_e32 v16, v16, v13, vcc
	v_cndmask_b32_e32 v15, v15, v14, vcc
	v_cmp_ge_i32_e64 s[2:3], v16, v7
	s_waitcnt lgkmcnt(0)
	v_cmp_gt_i32_e64 s[4:5], v11, v12
	v_cmp_lt_i32_e64 s[0:1], v15, v8
	s_or_b64 s[2:3], s[2:3], s[4:5]
	s_and_b64 s[0:1], s[0:1], s[2:3]
	s_xor_b64 s[2:3], s[0:1], -1
                                        ; implicit-def: $vgpr13
	s_and_saveexec_b64 s[4:5], s[2:3]
	s_xor_b64 s[2:3], exec, s[4:5]
	s_cbranch_execz .LBB22_38
; %bb.37:
	v_lshl_add_u32 v13, v16, 2, v0
	ds_read_b32 v13, v13 offset:4
.LBB22_38:
	s_or_saveexec_b64 s[2:3], s[2:3]
	v_mov_b32_e32 v14, v11
	s_xor_b64 exec, exec, s[2:3]
	s_cbranch_execz .LBB22_40
; %bb.39:
	s_waitcnt lgkmcnt(0)
	v_lshl_add_u32 v13, v15, 2, v0
	ds_read_b32 v14, v13 offset:4
	v_mov_b32_e32 v13, v12
.LBB22_40:
	s_or_b64 exec, exec, s[2:3]
	v_add_u32_e32 v18, 1, v16
	v_add_u32_e32 v17, 1, v15
	v_cndmask_b32_e64 v18, v18, v16, s[0:1]
	v_cndmask_b32_e64 v17, v15, v17, s[0:1]
	v_cmp_ge_i32_e64 s[4:5], v18, v7
	s_waitcnt lgkmcnt(0)
	v_cmp_gt_i32_e64 s[6:7], v14, v13
	v_cmp_lt_i32_e64 s[2:3], v17, v8
	s_or_b64 s[4:5], s[4:5], s[6:7]
	s_and_b64 s[2:3], s[2:3], s[4:5]
	s_xor_b64 s[4:5], s[2:3], -1
                                        ; implicit-def: $vgpr15
	s_and_saveexec_b64 s[6:7], s[4:5]
	s_xor_b64 s[4:5], exec, s[6:7]
	s_cbranch_execz .LBB22_42
; %bb.41:
	v_lshl_add_u32 v15, v18, 2, v0
	ds_read_b32 v15, v15 offset:4
.LBB22_42:
	s_or_saveexec_b64 s[4:5], s[4:5]
	v_mov_b32_e32 v16, v14
	s_xor_b64 exec, exec, s[4:5]
	s_cbranch_execz .LBB22_44
; %bb.43:
	s_waitcnt lgkmcnt(0)
	v_lshl_add_u32 v15, v17, 2, v0
	ds_read_b32 v16, v15 offset:4
	v_mov_b32_e32 v15, v13
.LBB22_44:
	s_or_b64 exec, exec, s[4:5]
	v_add_u32_e32 v20, 1, v18
	v_add_u32_e32 v19, 1, v17
	v_cndmask_b32_e64 v20, v20, v18, s[2:3]
	v_cndmask_b32_e64 v19, v17, v19, s[2:3]
	v_cmp_ge_i32_e64 s[6:7], v20, v7
	s_waitcnt lgkmcnt(0)
	v_cmp_gt_i32_e64 s[8:9], v16, v15
	v_cmp_lt_i32_e64 s[4:5], v19, v8
	s_or_b64 s[6:7], s[6:7], s[8:9]
	s_and_b64 s[4:5], s[4:5], s[6:7]
	s_xor_b64 s[6:7], s[4:5], -1
                                        ; implicit-def: $vgpr17
	s_and_saveexec_b64 s[8:9], s[6:7]
	s_xor_b64 s[6:7], exec, s[8:9]
	s_cbranch_execz .LBB22_46
; %bb.45:
	v_lshl_add_u32 v17, v20, 2, v0
	ds_read_b32 v17, v17 offset:4
.LBB22_46:
	s_or_saveexec_b64 s[6:7], s[6:7]
	v_mov_b32_e32 v18, v16
	s_xor_b64 exec, exec, s[6:7]
	s_cbranch_execz .LBB22_48
; %bb.47:
	s_waitcnt lgkmcnt(0)
	v_lshl_add_u32 v17, v19, 2, v0
	ds_read_b32 v18, v17 offset:4
	v_mov_b32_e32 v17, v15
.LBB22_48:
	s_or_b64 exec, exec, s[6:7]
	v_add_u32_e32 v22, 1, v20
	v_add_u32_e32 v21, 1, v19
	v_cndmask_b32_e64 v22, v22, v20, s[4:5]
	v_cndmask_b32_e64 v21, v19, v21, s[4:5]
	v_cmp_ge_i32_e64 s[8:9], v22, v7
	s_waitcnt lgkmcnt(0)
	v_cmp_gt_i32_e64 s[10:11], v18, v17
	v_cmp_lt_i32_e64 s[6:7], v21, v8
	s_or_b64 s[8:9], s[8:9], s[10:11]
	s_and_b64 s[6:7], s[6:7], s[8:9]
	s_xor_b64 s[8:9], s[6:7], -1
                                        ; implicit-def: $vgpr19
	s_and_saveexec_b64 s[10:11], s[8:9]
	s_xor_b64 s[8:9], exec, s[10:11]
	s_cbranch_execz .LBB22_50
; %bb.49:
	v_lshl_add_u32 v19, v22, 2, v0
	ds_read_b32 v19, v19 offset:4
.LBB22_50:
	s_or_saveexec_b64 s[8:9], s[8:9]
	v_mov_b32_e32 v20, v18
	s_xor_b64 exec, exec, s[8:9]
	s_cbranch_execz .LBB22_52
; %bb.51:
	s_waitcnt lgkmcnt(0)
	v_lshl_add_u32 v19, v21, 2, v0
	ds_read_b32 v20, v19 offset:4
	v_mov_b32_e32 v19, v17
.LBB22_52:
	s_or_b64 exec, exec, s[8:9]
	v_add_u32_e32 v24, 1, v22
	v_add_u32_e32 v23, 1, v21
	v_cndmask_b32_e64 v22, v24, v22, s[6:7]
	v_cndmask_b32_e64 v21, v21, v23, s[6:7]
	v_cmp_ge_i32_e64 s[10:11], v22, v7
	s_waitcnt lgkmcnt(0)
	v_cmp_gt_i32_e64 s[12:13], v20, v19
	v_cmp_lt_i32_e64 s[8:9], v21, v8
	s_or_b64 s[10:11], s[10:11], s[12:13]
	s_and_b64 s[8:9], s[8:9], s[10:11]
	s_xor_b64 s[10:11], s[8:9], -1
                                        ; implicit-def: $vgpr23
	s_and_saveexec_b64 s[12:13], s[10:11]
	s_xor_b64 s[10:11], exec, s[12:13]
	s_cbranch_execz .LBB22_54
; %bb.53:
	v_lshl_add_u32 v23, v22, 2, v0
	ds_read_b32 v23, v23 offset:4
.LBB22_54:
	s_or_saveexec_b64 s[10:11], s[10:11]
	v_mov_b32_e32 v24, v20
	s_xor_b64 exec, exec, s[10:11]
	s_cbranch_execz .LBB22_56
; %bb.55:
	s_waitcnt lgkmcnt(0)
	v_lshl_add_u32 v23, v21, 2, v0
	ds_read_b32 v24, v23 offset:4
	v_mov_b32_e32 v23, v19
.LBB22_56:
	s_or_b64 exec, exec, s[10:11]
	v_cndmask_b32_e64 v19, v19, v20, s[8:9]
	v_add_u32_e32 v20, 1, v21
	v_add_u32_e32 v25, 1, v22
	v_cndmask_b32_e64 v20, v21, v20, s[8:9]
	v_cndmask_b32_e64 v21, v25, v22, s[8:9]
	;; [unrolled: 1-line block ×4, first 2 shown]
	v_cmp_ge_i32_e64 s[0:1], v21, v7
	s_waitcnt lgkmcnt(0)
	v_cmp_gt_i32_e64 s[2:3], v24, v23
	v_cndmask_b32_e32 v9, v9, v10, vcc
	v_cmp_lt_i32_e32 vcc, v20, v8
	s_or_b64 s[0:1], s[0:1], s[2:3]
	s_and_b64 vcc, vcc, s[0:1]
	v_cndmask_b32_e32 v7, v23, v24, vcc
	v_cndmask_b32_e64 v17, v17, v18, s[6:7]
	v_cndmask_b32_e64 v15, v15, v16, s[4:5]
	; wave barrier
	ds_write2_b32 v3, v9, v11 offset1:1
	ds_write2_b32 v3, v13, v15 offset0:2 offset1:3
	ds_write2_b32 v3, v17, v19 offset0:4 offset1:5
	ds_write_b32 v3, v7 offset:24
	v_and_b32_e32 v7, 24, v6
	v_mul_u32_u24_e32 v13, 7, v7
	v_and_b32_e32 v7, 7, v6
	v_not_b32_e32 v8, 27
	v_mul_u32_u24_e32 v11, 7, v7
	v_mad_u32_u24 v8, v7, 7, v8
	v_cmp_lt_u32_e32 vcc, 3, v7
	v_cndmask_b32_e32 v14, 0, v8, vcc
	v_min_u32_e32 v7, 28, v11
	v_lshl_add_u32 v9, v13, 2, v0
	v_cmp_lt_i32_e32 vcc, v14, v7
	; wave barrier
	s_and_saveexec_b64 s[0:1], vcc
	s_cbranch_execz .LBB22_60
; %bb.57:
	v_lshlrev_b32_e32 v8, 2, v11
	s_movk_i32 s2, 0x70
	v_add3_u32 v8, v9, v8, s2
	s_mov_b64 s[2:3], 0
.LBB22_58:                              ; =>This Inner Loop Header: Depth=1
	v_sub_u32_e32 v10, v7, v14
	v_lshrrev_b32_e32 v12, 31, v10
	v_add_u32_e32 v10, v10, v12
	v_ashrrev_i32_e32 v10, 1, v10
	v_add_u32_e32 v10, v10, v14
	v_not_b32_e32 v15, v10
	v_lshl_add_u32 v12, v10, 2, v9
	v_lshl_add_u32 v15, v15, 2, v8
	ds_read_b32 v12, v12
	ds_read_b32 v15, v15
	v_add_u32_e32 v16, 1, v10
	s_waitcnt lgkmcnt(0)
	v_cmp_gt_i32_e32 vcc, v15, v12
	v_cndmask_b32_e32 v7, v7, v10, vcc
	v_cndmask_b32_e32 v14, v16, v14, vcc
	v_cmp_ge_i32_e32 vcc, v14, v7
	s_or_b64 s[2:3], vcc, s[2:3]
	s_andn2_b64 exec, exec, s[2:3]
	s_cbranch_execnz .LBB22_58
; %bb.59:
	s_or_b64 exec, exec, s[2:3]
.LBB22_60:
	s_or_b64 exec, exec, s[0:1]
	v_lshl_add_u32 v17, v14, 2, v9
	v_add_u32_e32 v9, v13, v11
	v_sub_u32_e32 v9, v9, v14
	v_lshl_add_u32 v16, v9, 2, v0
	ds_read_b32 v9, v17
	ds_read_b32 v10, v16 offset:112
	v_add_u32_e32 v7, 28, v13
	v_add_u32_e32 v11, v7, v11
	;; [unrolled: 1-line block ×3, first 2 shown]
	v_sub_u32_e32 v15, v11, v14
	v_cmp_lt_i32_e64 s[0:1], 27, v14
	s_waitcnt lgkmcnt(0)
	v_cmp_gt_i32_e64 s[2:3], v10, v9
	v_cmp_gt_i32_e32 vcc, v8, v15
	s_or_b64 s[0:1], s[0:1], s[2:3]
	s_and_b64 vcc, vcc, s[0:1]
	s_xor_b64 s[0:1], vcc, -1
                                        ; implicit-def: $vgpr11
                                        ; implicit-def: $vgpr12
	s_and_saveexec_b64 s[2:3], s[0:1]
	s_xor_b64 s[0:1], exec, s[2:3]
	s_cbranch_execz .LBB22_62
; %bb.61:
	ds_read_b32 v12, v17 offset:4
	v_mov_b32_e32 v11, v10
                                        ; implicit-def: $vgpr16
.LBB22_62:
	s_andn2_saveexec_b64 s[0:1], s[0:1]
	s_cbranch_execz .LBB22_64
; %bb.63:
	ds_read_b32 v11, v16 offset:116
	s_waitcnt lgkmcnt(1)
	v_mov_b32_e32 v12, v9
.LBB22_64:
	s_or_b64 exec, exec, s[0:1]
	v_add_u32_e32 v13, v14, v13
	v_add_u32_e32 v16, 1, v13
	v_add_u32_e32 v14, 1, v15
	v_cndmask_b32_e32 v16, v16, v13, vcc
	v_cndmask_b32_e32 v15, v15, v14, vcc
	v_cmp_ge_i32_e64 s[2:3], v16, v7
	s_waitcnt lgkmcnt(0)
	v_cmp_gt_i32_e64 s[4:5], v11, v12
	v_cmp_lt_i32_e64 s[0:1], v15, v8
	s_or_b64 s[2:3], s[2:3], s[4:5]
	s_and_b64 s[0:1], s[0:1], s[2:3]
	s_xor_b64 s[2:3], s[0:1], -1
                                        ; implicit-def: $vgpr13
	s_and_saveexec_b64 s[4:5], s[2:3]
	s_xor_b64 s[2:3], exec, s[4:5]
	s_cbranch_execz .LBB22_66
; %bb.65:
	v_lshl_add_u32 v13, v16, 2, v0
	ds_read_b32 v13, v13 offset:4
.LBB22_66:
	s_or_saveexec_b64 s[2:3], s[2:3]
	v_mov_b32_e32 v14, v11
	s_xor_b64 exec, exec, s[2:3]
	s_cbranch_execz .LBB22_68
; %bb.67:
	s_waitcnt lgkmcnt(0)
	v_lshl_add_u32 v13, v15, 2, v0
	ds_read_b32 v14, v13 offset:4
	v_mov_b32_e32 v13, v12
.LBB22_68:
	s_or_b64 exec, exec, s[2:3]
	v_add_u32_e32 v18, 1, v16
	v_add_u32_e32 v17, 1, v15
	v_cndmask_b32_e64 v18, v18, v16, s[0:1]
	v_cndmask_b32_e64 v17, v15, v17, s[0:1]
	v_cmp_ge_i32_e64 s[4:5], v18, v7
	s_waitcnt lgkmcnt(0)
	v_cmp_gt_i32_e64 s[6:7], v14, v13
	v_cmp_lt_i32_e64 s[2:3], v17, v8
	s_or_b64 s[4:5], s[4:5], s[6:7]
	s_and_b64 s[2:3], s[2:3], s[4:5]
	s_xor_b64 s[4:5], s[2:3], -1
                                        ; implicit-def: $vgpr15
	s_and_saveexec_b64 s[6:7], s[4:5]
	s_xor_b64 s[4:5], exec, s[6:7]
	s_cbranch_execz .LBB22_70
; %bb.69:
	v_lshl_add_u32 v15, v18, 2, v0
	ds_read_b32 v15, v15 offset:4
.LBB22_70:
	s_or_saveexec_b64 s[4:5], s[4:5]
	v_mov_b32_e32 v16, v14
	s_xor_b64 exec, exec, s[4:5]
	s_cbranch_execz .LBB22_72
; %bb.71:
	s_waitcnt lgkmcnt(0)
	v_lshl_add_u32 v15, v17, 2, v0
	ds_read_b32 v16, v15 offset:4
	v_mov_b32_e32 v15, v13
.LBB22_72:
	s_or_b64 exec, exec, s[4:5]
	v_add_u32_e32 v20, 1, v18
	v_add_u32_e32 v19, 1, v17
	v_cndmask_b32_e64 v20, v20, v18, s[2:3]
	v_cndmask_b32_e64 v19, v17, v19, s[2:3]
	v_cmp_ge_i32_e64 s[6:7], v20, v7
	s_waitcnt lgkmcnt(0)
	v_cmp_gt_i32_e64 s[8:9], v16, v15
	v_cmp_lt_i32_e64 s[4:5], v19, v8
	s_or_b64 s[6:7], s[6:7], s[8:9]
	s_and_b64 s[4:5], s[4:5], s[6:7]
	s_xor_b64 s[6:7], s[4:5], -1
                                        ; implicit-def: $vgpr17
	s_and_saveexec_b64 s[8:9], s[6:7]
	s_xor_b64 s[6:7], exec, s[8:9]
	s_cbranch_execz .LBB22_74
; %bb.73:
	v_lshl_add_u32 v17, v20, 2, v0
	ds_read_b32 v17, v17 offset:4
.LBB22_74:
	s_or_saveexec_b64 s[6:7], s[6:7]
	v_mov_b32_e32 v18, v16
	s_xor_b64 exec, exec, s[6:7]
	s_cbranch_execz .LBB22_76
; %bb.75:
	s_waitcnt lgkmcnt(0)
	v_lshl_add_u32 v17, v19, 2, v0
	ds_read_b32 v18, v17 offset:4
	v_mov_b32_e32 v17, v15
.LBB22_76:
	s_or_b64 exec, exec, s[6:7]
	v_add_u32_e32 v22, 1, v20
	v_add_u32_e32 v21, 1, v19
	v_cndmask_b32_e64 v22, v22, v20, s[4:5]
	v_cndmask_b32_e64 v21, v19, v21, s[4:5]
	v_cmp_ge_i32_e64 s[8:9], v22, v7
	s_waitcnt lgkmcnt(0)
	v_cmp_gt_i32_e64 s[10:11], v18, v17
	v_cmp_lt_i32_e64 s[6:7], v21, v8
	s_or_b64 s[8:9], s[8:9], s[10:11]
	s_and_b64 s[6:7], s[6:7], s[8:9]
	s_xor_b64 s[8:9], s[6:7], -1
                                        ; implicit-def: $vgpr19
	s_and_saveexec_b64 s[10:11], s[8:9]
	s_xor_b64 s[8:9], exec, s[10:11]
	s_cbranch_execz .LBB22_78
; %bb.77:
	v_lshl_add_u32 v19, v22, 2, v0
	ds_read_b32 v19, v19 offset:4
.LBB22_78:
	s_or_saveexec_b64 s[8:9], s[8:9]
	v_mov_b32_e32 v20, v18
	s_xor_b64 exec, exec, s[8:9]
	s_cbranch_execz .LBB22_80
; %bb.79:
	s_waitcnt lgkmcnt(0)
	v_lshl_add_u32 v19, v21, 2, v0
	ds_read_b32 v20, v19 offset:4
	v_mov_b32_e32 v19, v17
.LBB22_80:
	s_or_b64 exec, exec, s[8:9]
	v_add_u32_e32 v24, 1, v22
	v_add_u32_e32 v23, 1, v21
	v_cndmask_b32_e64 v22, v24, v22, s[6:7]
	v_cndmask_b32_e64 v21, v21, v23, s[6:7]
	v_cmp_ge_i32_e64 s[10:11], v22, v7
	s_waitcnt lgkmcnt(0)
	v_cmp_gt_i32_e64 s[12:13], v20, v19
	v_cmp_lt_i32_e64 s[8:9], v21, v8
	s_or_b64 s[10:11], s[10:11], s[12:13]
	s_and_b64 s[8:9], s[8:9], s[10:11]
	s_xor_b64 s[10:11], s[8:9], -1
                                        ; implicit-def: $vgpr23
	s_and_saveexec_b64 s[12:13], s[10:11]
	s_xor_b64 s[10:11], exec, s[12:13]
	s_cbranch_execz .LBB22_82
; %bb.81:
	v_lshl_add_u32 v23, v22, 2, v0
	ds_read_b32 v23, v23 offset:4
.LBB22_82:
	s_or_saveexec_b64 s[10:11], s[10:11]
	v_mov_b32_e32 v24, v20
	s_xor_b64 exec, exec, s[10:11]
	s_cbranch_execz .LBB22_84
; %bb.83:
	s_waitcnt lgkmcnt(0)
	v_lshl_add_u32 v23, v21, 2, v0
	ds_read_b32 v24, v23 offset:4
	v_mov_b32_e32 v23, v19
.LBB22_84:
	s_or_b64 exec, exec, s[10:11]
	v_cndmask_b32_e64 v19, v19, v20, s[8:9]
	v_add_u32_e32 v20, 1, v21
	v_add_u32_e32 v25, 1, v22
	v_cndmask_b32_e64 v20, v21, v20, s[8:9]
	v_cndmask_b32_e64 v21, v25, v22, s[8:9]
	;; [unrolled: 1-line block ×4, first 2 shown]
	v_cmp_ge_i32_e64 s[0:1], v21, v7
	s_waitcnt lgkmcnt(0)
	v_cmp_gt_i32_e64 s[2:3], v24, v23
	v_cndmask_b32_e32 v9, v9, v10, vcc
	v_cmp_lt_i32_e32 vcc, v20, v8
	s_or_b64 s[0:1], s[0:1], s[2:3]
	s_and_b64 vcc, vcc, s[0:1]
	v_cndmask_b32_e32 v7, v23, v24, vcc
	v_cndmask_b32_e64 v17, v17, v18, s[6:7]
	v_cndmask_b32_e64 v15, v15, v16, s[4:5]
	; wave barrier
	ds_write2_b32 v3, v9, v11 offset1:1
	ds_write2_b32 v3, v13, v15 offset0:2 offset1:3
	ds_write2_b32 v3, v17, v19 offset0:4 offset1:5
	ds_write_b32 v3, v7 offset:24
	v_and_b32_e32 v7, 16, v6
	v_mul_u32_u24_e32 v12, 7, v7
	v_and_b32_e32 v6, 15, v6
	v_not_b32_e32 v7, 55
	v_mul_u32_u24_e32 v10, 7, v6
	v_mad_u32_u24 v7, v6, 7, v7
	v_cmp_lt_u32_e32 vcc, 7, v6
	v_cndmask_b32_e32 v13, 0, v7, vcc
	v_min_u32_e32 v6, 56, v10
	v_lshl_add_u32 v8, v12, 2, v0
	v_cmp_lt_i32_e32 vcc, v13, v6
	; wave barrier
	s_and_saveexec_b64 s[0:1], vcc
	s_cbranch_execz .LBB22_88
; %bb.85:
	v_lshlrev_b32_e32 v7, 2, v10
	s_movk_i32 s2, 0xe0
	v_add3_u32 v7, v8, v7, s2
	s_mov_b64 s[2:3], 0
.LBB22_86:                              ; =>This Inner Loop Header: Depth=1
	v_sub_u32_e32 v9, v6, v13
	v_lshrrev_b32_e32 v11, 31, v9
	v_add_u32_e32 v9, v9, v11
	v_ashrrev_i32_e32 v9, 1, v9
	v_add_u32_e32 v9, v9, v13
	v_not_b32_e32 v14, v9
	v_lshl_add_u32 v11, v9, 2, v8
	v_lshl_add_u32 v14, v14, 2, v7
	ds_read_b32 v11, v11
	ds_read_b32 v14, v14
	v_add_u32_e32 v15, 1, v9
	s_waitcnt lgkmcnt(0)
	v_cmp_gt_i32_e32 vcc, v14, v11
	v_cndmask_b32_e32 v6, v6, v9, vcc
	v_cndmask_b32_e32 v13, v15, v13, vcc
	v_cmp_ge_i32_e32 vcc, v13, v6
	s_or_b64 s[2:3], vcc, s[2:3]
	s_andn2_b64 exec, exec, s[2:3]
	s_cbranch_execnz .LBB22_86
; %bb.87:
	s_or_b64 exec, exec, s[2:3]
.LBB22_88:
	s_or_b64 exec, exec, s[0:1]
	v_lshl_add_u32 v16, v13, 2, v8
	v_add_u32_e32 v8, v12, v10
	v_sub_u32_e32 v8, v8, v13
	v_lshl_add_u32 v15, v8, 2, v0
	ds_read_b32 v8, v16
	ds_read_b32 v9, v15 offset:224
	v_add_u32_e32 v6, 56, v12
	v_add_u32_e32 v10, v6, v10
	;; [unrolled: 1-line block ×3, first 2 shown]
	v_sub_u32_e32 v14, v10, v13
	v_cmp_lt_i32_e64 s[0:1], 55, v13
	s_waitcnt lgkmcnt(0)
	v_cmp_gt_i32_e64 s[2:3], v9, v8
	v_cmp_gt_i32_e32 vcc, v7, v14
	s_or_b64 s[0:1], s[0:1], s[2:3]
	s_and_b64 vcc, vcc, s[0:1]
	s_xor_b64 s[0:1], vcc, -1
                                        ; implicit-def: $vgpr10
                                        ; implicit-def: $vgpr11
	s_and_saveexec_b64 s[2:3], s[0:1]
	s_xor_b64 s[0:1], exec, s[2:3]
	s_cbranch_execz .LBB22_90
; %bb.89:
	ds_read_b32 v11, v16 offset:4
	v_mov_b32_e32 v10, v9
                                        ; implicit-def: $vgpr15
.LBB22_90:
	s_andn2_saveexec_b64 s[0:1], s[0:1]
	s_cbranch_execz .LBB22_92
; %bb.91:
	ds_read_b32 v10, v15 offset:228
	s_waitcnt lgkmcnt(1)
	v_mov_b32_e32 v11, v8
.LBB22_92:
	s_or_b64 exec, exec, s[0:1]
	v_add_u32_e32 v12, v13, v12
	v_add_u32_e32 v15, 1, v12
	;; [unrolled: 1-line block ×3, first 2 shown]
	v_cndmask_b32_e32 v15, v15, v12, vcc
	v_cndmask_b32_e32 v14, v14, v13, vcc
	v_cmp_ge_i32_e64 s[2:3], v15, v6
	s_waitcnt lgkmcnt(0)
	v_cmp_gt_i32_e64 s[4:5], v10, v11
	v_cmp_lt_i32_e64 s[0:1], v14, v7
	s_or_b64 s[2:3], s[2:3], s[4:5]
	s_and_b64 s[0:1], s[0:1], s[2:3]
	s_xor_b64 s[2:3], s[0:1], -1
                                        ; implicit-def: $vgpr12
	s_and_saveexec_b64 s[4:5], s[2:3]
	s_xor_b64 s[2:3], exec, s[4:5]
	s_cbranch_execz .LBB22_94
; %bb.93:
	v_lshl_add_u32 v12, v15, 2, v0
	ds_read_b32 v12, v12 offset:4
.LBB22_94:
	s_or_saveexec_b64 s[2:3], s[2:3]
	v_mov_b32_e32 v13, v10
	s_xor_b64 exec, exec, s[2:3]
	s_cbranch_execz .LBB22_96
; %bb.95:
	s_waitcnt lgkmcnt(0)
	v_lshl_add_u32 v12, v14, 2, v0
	ds_read_b32 v13, v12 offset:4
	v_mov_b32_e32 v12, v11
.LBB22_96:
	s_or_b64 exec, exec, s[2:3]
	v_add_u32_e32 v17, 1, v15
	v_add_u32_e32 v16, 1, v14
	v_cndmask_b32_e64 v17, v17, v15, s[0:1]
	v_cndmask_b32_e64 v16, v14, v16, s[0:1]
	v_cmp_ge_i32_e64 s[4:5], v17, v6
	s_waitcnt lgkmcnt(0)
	v_cmp_gt_i32_e64 s[6:7], v13, v12
	v_cmp_lt_i32_e64 s[2:3], v16, v7
	s_or_b64 s[4:5], s[4:5], s[6:7]
	s_and_b64 s[2:3], s[2:3], s[4:5]
	s_xor_b64 s[4:5], s[2:3], -1
                                        ; implicit-def: $vgpr14
	s_and_saveexec_b64 s[6:7], s[4:5]
	s_xor_b64 s[4:5], exec, s[6:7]
	s_cbranch_execz .LBB22_98
; %bb.97:
	v_lshl_add_u32 v14, v17, 2, v0
	ds_read_b32 v14, v14 offset:4
.LBB22_98:
	s_or_saveexec_b64 s[4:5], s[4:5]
	v_mov_b32_e32 v15, v13
	s_xor_b64 exec, exec, s[4:5]
	s_cbranch_execz .LBB22_100
; %bb.99:
	s_waitcnt lgkmcnt(0)
	v_lshl_add_u32 v14, v16, 2, v0
	ds_read_b32 v15, v14 offset:4
	v_mov_b32_e32 v14, v12
.LBB22_100:
	s_or_b64 exec, exec, s[4:5]
	v_add_u32_e32 v19, 1, v17
	v_add_u32_e32 v18, 1, v16
	v_cndmask_b32_e64 v19, v19, v17, s[2:3]
	v_cndmask_b32_e64 v18, v16, v18, s[2:3]
	v_cmp_ge_i32_e64 s[6:7], v19, v6
	s_waitcnt lgkmcnt(0)
	v_cmp_gt_i32_e64 s[8:9], v15, v14
	v_cmp_lt_i32_e64 s[4:5], v18, v7
	s_or_b64 s[6:7], s[6:7], s[8:9]
	s_and_b64 s[4:5], s[4:5], s[6:7]
	s_xor_b64 s[6:7], s[4:5], -1
                                        ; implicit-def: $vgpr16
	s_and_saveexec_b64 s[8:9], s[6:7]
	s_xor_b64 s[6:7], exec, s[8:9]
	s_cbranch_execz .LBB22_102
; %bb.101:
	v_lshl_add_u32 v16, v19, 2, v0
	ds_read_b32 v16, v16 offset:4
.LBB22_102:
	s_or_saveexec_b64 s[6:7], s[6:7]
	v_mov_b32_e32 v17, v15
	s_xor_b64 exec, exec, s[6:7]
	s_cbranch_execz .LBB22_104
; %bb.103:
	s_waitcnt lgkmcnt(0)
	v_lshl_add_u32 v16, v18, 2, v0
	ds_read_b32 v17, v16 offset:4
	v_mov_b32_e32 v16, v14
.LBB22_104:
	s_or_b64 exec, exec, s[6:7]
	v_add_u32_e32 v21, 1, v19
	v_add_u32_e32 v20, 1, v18
	v_cndmask_b32_e64 v21, v21, v19, s[4:5]
	v_cndmask_b32_e64 v20, v18, v20, s[4:5]
	v_cmp_ge_i32_e64 s[8:9], v21, v6
	s_waitcnt lgkmcnt(0)
	v_cmp_gt_i32_e64 s[10:11], v17, v16
	v_cmp_lt_i32_e64 s[6:7], v20, v7
	s_or_b64 s[8:9], s[8:9], s[10:11]
	s_and_b64 s[6:7], s[6:7], s[8:9]
	s_xor_b64 s[8:9], s[6:7], -1
                                        ; implicit-def: $vgpr18
	s_and_saveexec_b64 s[10:11], s[8:9]
	s_xor_b64 s[8:9], exec, s[10:11]
	s_cbranch_execz .LBB22_106
; %bb.105:
	v_lshl_add_u32 v18, v21, 2, v0
	ds_read_b32 v18, v18 offset:4
.LBB22_106:
	s_or_saveexec_b64 s[8:9], s[8:9]
	v_mov_b32_e32 v19, v17
	s_xor_b64 exec, exec, s[8:9]
	s_cbranch_execz .LBB22_108
; %bb.107:
	s_waitcnt lgkmcnt(0)
	v_lshl_add_u32 v18, v20, 2, v0
	ds_read_b32 v19, v18 offset:4
	v_mov_b32_e32 v18, v16
.LBB22_108:
	s_or_b64 exec, exec, s[8:9]
	v_add_u32_e32 v23, 1, v21
	v_add_u32_e32 v22, 1, v20
	v_cndmask_b32_e64 v21, v23, v21, s[6:7]
	v_cndmask_b32_e64 v20, v20, v22, s[6:7]
	v_cmp_ge_i32_e64 s[10:11], v21, v6
	s_waitcnt lgkmcnt(0)
	v_cmp_gt_i32_e64 s[12:13], v19, v18
	v_cmp_lt_i32_e64 s[8:9], v20, v7
	s_or_b64 s[10:11], s[10:11], s[12:13]
	s_and_b64 s[8:9], s[8:9], s[10:11]
	s_xor_b64 s[10:11], s[8:9], -1
                                        ; implicit-def: $vgpr22
	s_and_saveexec_b64 s[12:13], s[10:11]
	s_xor_b64 s[10:11], exec, s[12:13]
	s_cbranch_execz .LBB22_110
; %bb.109:
	v_lshl_add_u32 v22, v21, 2, v0
	ds_read_b32 v22, v22 offset:4
.LBB22_110:
	s_or_saveexec_b64 s[10:11], s[10:11]
	v_mov_b32_e32 v23, v19
	s_xor_b64 exec, exec, s[10:11]
	s_cbranch_execz .LBB22_112
; %bb.111:
	s_waitcnt lgkmcnt(0)
	v_lshl_add_u32 v22, v20, 2, v0
	ds_read_b32 v23, v22 offset:4
	v_mov_b32_e32 v22, v18
.LBB22_112:
	s_or_b64 exec, exec, s[10:11]
	v_cndmask_b32_e64 v18, v18, v19, s[8:9]
	v_add_u32_e32 v19, 1, v20
	v_add_u32_e32 v24, 1, v21
	v_cndmask_b32_e64 v19, v20, v19, s[8:9]
	v_cndmask_b32_e64 v20, v24, v21, s[8:9]
	;; [unrolled: 1-line block ×4, first 2 shown]
	v_cmp_ge_i32_e64 s[0:1], v20, v6
	s_waitcnt lgkmcnt(0)
	v_cmp_gt_i32_e64 s[2:3], v23, v22
	v_cndmask_b32_e32 v8, v8, v9, vcc
	v_cmp_lt_i32_e32 vcc, v19, v7
	s_or_b64 s[0:1], s[0:1], s[2:3]
	s_and_b64 vcc, vcc, s[0:1]
	v_cndmask_b32_e32 v6, v22, v23, vcc
	v_cndmask_b32_e64 v16, v16, v17, s[6:7]
	v_cndmask_b32_e64 v14, v14, v15, s[4:5]
	; wave barrier
	ds_write2_b32 v3, v8, v10 offset1:1
	ds_write2_b32 v3, v12, v14 offset0:2 offset1:3
	ds_write2_b32 v3, v16, v18 offset0:4 offset1:5
	ds_write_b32 v3, v6 offset:24
	v_add_u32_e32 v6, 0xffffff90, v2
	v_cmp_lt_u32_e32 vcc, 15, v1
	v_cndmask_b32_e32 v1, 0, v6, vcc
	v_min_i32_e32 v6, 0x70, v2
	v_cmp_lt_i32_e32 vcc, v1, v6
	; wave barrier
	s_and_saveexec_b64 s[0:1], vcc
	s_cbranch_execz .LBB22_116
; %bb.113:
	v_add_u32_e32 v3, 0x1c0, v3
	s_mov_b64 s[2:3], 0
.LBB22_114:                             ; =>This Inner Loop Header: Depth=1
	v_sub_u32_e32 v7, v6, v1
	v_lshrrev_b32_e32 v8, 31, v7
	v_add_u32_e32 v7, v7, v8
	v_ashrrev_i32_e32 v7, 1, v7
	v_add_u32_e32 v7, v7, v1
	v_not_b32_e32 v9, v7
	v_lshl_add_u32 v8, v7, 2, v0
	v_lshl_add_u32 v9, v9, 2, v3
	ds_read_b32 v8, v8
	ds_read_b32 v9, v9
	v_add_u32_e32 v10, 1, v7
	s_waitcnt lgkmcnt(0)
	v_cmp_gt_i32_e32 vcc, v9, v8
	v_cndmask_b32_e32 v6, v6, v7, vcc
	v_cndmask_b32_e32 v1, v10, v1, vcc
	v_cmp_ge_i32_e32 vcc, v1, v6
	s_or_b64 s[2:3], vcc, s[2:3]
	s_andn2_b64 exec, exec, s[2:3]
	s_cbranch_execnz .LBB22_114
; %bb.115:
	s_or_b64 exec, exec, s[2:3]
.LBB22_116:
	s_or_b64 exec, exec, s[0:1]
	v_sub_u32_e32 v2, v2, v1
	v_lshl_add_u32 v10, v1, 2, v0
	v_add_u32_e32 v8, 0x70, v2
	v_lshl_add_u32 v9, v2, 2, v0
	ds_read_b32 v2, v10
	ds_read_b32 v3, v9 offset:448
	s_movk_i32 s0, 0xe0
	v_cmp_gt_i32_e32 vcc, s0, v8
	s_movk_i32 s0, 0x6f
	v_cmp_lt_i32_e64 s[0:1], s0, v1
	s_waitcnt lgkmcnt(0)
	v_cmp_gt_i32_e64 s[2:3], v3, v2
	s_or_b64 s[0:1], s[0:1], s[2:3]
	s_and_b64 vcc, vcc, s[0:1]
	s_xor_b64 s[0:1], vcc, -1
                                        ; implicit-def: $vgpr6
                                        ; implicit-def: $vgpr7
	s_and_saveexec_b64 s[2:3], s[0:1]
	s_xor_b64 s[0:1], exec, s[2:3]
	s_cbranch_execz .LBB22_118
; %bb.117:
	ds_read_b32 v7, v10 offset:4
	v_mov_b32_e32 v6, v3
                                        ; implicit-def: $vgpr9
.LBB22_118:
	s_andn2_saveexec_b64 s[0:1], s[0:1]
	s_cbranch_execz .LBB22_120
; %bb.119:
	ds_read_b32 v6, v9 offset:452
	s_waitcnt lgkmcnt(1)
	v_mov_b32_e32 v7, v2
.LBB22_120:
	s_or_b64 exec, exec, s[0:1]
	v_add_u32_e32 v11, 1, v1
	v_add_u32_e32 v9, 1, v8
	v_cndmask_b32_e32 v11, v11, v1, vcc
	s_movk_i32 s2, 0x6f
	v_cndmask_b32_e32 v10, v8, v9, vcc
	s_movk_i32 s0, 0xe0
	v_cmp_lt_i32_e64 s[2:3], s2, v11
	s_waitcnt lgkmcnt(0)
	v_cmp_gt_i32_e64 s[4:5], v6, v7
	v_cmp_gt_i32_e64 s[0:1], s0, v10
	s_or_b64 s[2:3], s[2:3], s[4:5]
	s_and_b64 s[0:1], s[0:1], s[2:3]
	s_xor_b64 s[2:3], s[0:1], -1
                                        ; implicit-def: $vgpr8
	s_and_saveexec_b64 s[4:5], s[2:3]
	s_xor_b64 s[2:3], exec, s[4:5]
	s_cbranch_execz .LBB22_122
; %bb.121:
	v_lshl_add_u32 v1, v11, 2, v0
	ds_read_b32 v8, v1 offset:4
.LBB22_122:
	s_or_saveexec_b64 s[2:3], s[2:3]
	v_mov_b32_e32 v9, v6
	s_xor_b64 exec, exec, s[2:3]
	s_cbranch_execz .LBB22_124
; %bb.123:
	v_lshl_add_u32 v1, v10, 2, v0
	ds_read_b32 v9, v1 offset:4
	s_waitcnt lgkmcnt(1)
	v_mov_b32_e32 v8, v7
.LBB22_124:
	s_or_b64 exec, exec, s[2:3]
	v_add_u32_e32 v12, 1, v11
	v_add_u32_e32 v1, 1, v10
	v_cndmask_b32_e64 v12, v12, v11, s[0:1]
	s_movk_i32 s4, 0x6f
	v_cndmask_b32_e64 v1, v10, v1, s[0:1]
	s_movk_i32 s2, 0xe0
	v_cmp_lt_i32_e64 s[4:5], s4, v12
	s_waitcnt lgkmcnt(0)
	v_cmp_gt_i32_e64 s[6:7], v9, v8
	v_cmp_gt_i32_e64 s[2:3], s2, v1
	s_or_b64 s[4:5], s[4:5], s[6:7]
	s_and_b64 s[2:3], s[2:3], s[4:5]
	s_xor_b64 s[4:5], s[2:3], -1
                                        ; implicit-def: $vgpr10
	s_and_saveexec_b64 s[6:7], s[4:5]
	s_xor_b64 s[4:5], exec, s[6:7]
	s_cbranch_execz .LBB22_126
; %bb.125:
	v_lshl_add_u32 v10, v12, 2, v0
	ds_read_b32 v10, v10 offset:4
.LBB22_126:
	s_or_saveexec_b64 s[4:5], s[4:5]
	v_mov_b32_e32 v11, v9
	s_xor_b64 exec, exec, s[4:5]
	s_cbranch_execz .LBB22_128
; %bb.127:
	s_waitcnt lgkmcnt(0)
	v_lshl_add_u32 v10, v1, 2, v0
	ds_read_b32 v11, v10 offset:4
	v_mov_b32_e32 v10, v8
.LBB22_128:
	s_or_b64 exec, exec, s[4:5]
	v_add_u32_e32 v14, 1, v12
	v_add_u32_e32 v13, 1, v1
	v_cndmask_b32_e64 v14, v14, v12, s[2:3]
	s_movk_i32 s6, 0x6f
	v_cndmask_b32_e64 v1, v1, v13, s[2:3]
	s_movk_i32 s4, 0xe0
	v_cmp_lt_i32_e64 s[6:7], s6, v14
	s_waitcnt lgkmcnt(0)
	v_cmp_gt_i32_e64 s[8:9], v11, v10
	v_cmp_gt_i32_e64 s[4:5], s4, v1
	s_or_b64 s[6:7], s[6:7], s[8:9]
	s_and_b64 s[4:5], s[4:5], s[6:7]
	s_xor_b64 s[6:7], s[4:5], -1
                                        ; implicit-def: $vgpr12
	s_and_saveexec_b64 s[8:9], s[6:7]
	s_xor_b64 s[6:7], exec, s[8:9]
	s_cbranch_execz .LBB22_130
; %bb.129:
	v_lshl_add_u32 v12, v14, 2, v0
	ds_read_b32 v12, v12 offset:4
.LBB22_130:
	s_or_saveexec_b64 s[6:7], s[6:7]
	v_mov_b32_e32 v13, v11
	s_xor_b64 exec, exec, s[6:7]
	s_cbranch_execz .LBB22_132
; %bb.131:
	s_waitcnt lgkmcnt(0)
	v_lshl_add_u32 v12, v1, 2, v0
	ds_read_b32 v13, v12 offset:4
	v_mov_b32_e32 v12, v10
.LBB22_132:
	s_or_b64 exec, exec, s[6:7]
	v_add_u32_e32 v16, 1, v14
	v_add_u32_e32 v15, 1, v1
	v_cndmask_b32_e64 v17, v16, v14, s[4:5]
	s_movk_i32 s8, 0x6f
	v_cndmask_b32_e64 v1, v1, v15, s[4:5]
	s_movk_i32 s6, 0xe0
	v_cmp_lt_i32_e64 s[8:9], s8, v17
	s_waitcnt lgkmcnt(0)
	v_cmp_gt_i32_e64 s[10:11], v13, v12
	v_cmp_gt_i32_e64 s[6:7], s6, v1
	s_or_b64 s[8:9], s[8:9], s[10:11]
	s_and_b64 s[6:7], s[6:7], s[8:9]
	s_xor_b64 s[8:9], s[6:7], -1
                                        ; implicit-def: $vgpr15
	s_and_saveexec_b64 s[10:11], s[8:9]
	s_xor_b64 s[8:9], exec, s[10:11]
	s_cbranch_execz .LBB22_134
; %bb.133:
	v_lshl_add_u32 v14, v17, 2, v0
	ds_read_b32 v15, v14 offset:4
.LBB22_134:
	s_or_saveexec_b64 s[8:9], s[8:9]
	v_mov_b32_e32 v14, v13
	s_xor_b64 exec, exec, s[8:9]
	s_cbranch_execz .LBB22_136
; %bb.135:
	v_lshl_add_u32 v14, v1, 2, v0
	ds_read_b32 v14, v14 offset:4
	s_waitcnt lgkmcnt(1)
	v_mov_b32_e32 v15, v12
.LBB22_136:
	s_or_b64 exec, exec, s[8:9]
	v_add_u32_e32 v18, 1, v17
	v_add_u32_e32 v16, 1, v1
	v_cndmask_b32_e64 v19, v18, v17, s[6:7]
	s_movk_i32 s10, 0x70
	v_cndmask_b32_e64 v16, v1, v16, s[6:7]
	s_movk_i32 s8, 0xdf
	v_cmp_gt_i32_e64 s[10:11], s10, v19
	s_waitcnt lgkmcnt(0)
	v_cmp_le_i32_e64 s[12:13], v14, v15
	v_cmp_lt_i32_e64 s[8:9], s8, v16
	s_and_b64 s[10:11], s[10:11], s[12:13]
	s_or_b64 s[8:9], s[8:9], s[10:11]
                                        ; implicit-def: $vgpr17
                                        ; implicit-def: $vgpr18
	s_and_saveexec_b64 s[10:11], s[8:9]
	s_xor_b64 s[8:9], exec, s[10:11]
	s_cbranch_execz .LBB22_138
; %bb.137:
	v_lshl_add_u32 v0, v19, 2, v0
	ds_read_b32 v17, v0 offset:4
	v_add_u32_e32 v18, 1, v19
                                        ; implicit-def: $vgpr19
                                        ; implicit-def: $vgpr0
.LBB22_138:
	s_or_saveexec_b64 s[8:9], s[8:9]
	v_mov_b32_e32 v1, v15
	s_xor_b64 exec, exec, s[8:9]
	s_cbranch_execz .LBB22_140
; %bb.139:
	v_lshl_add_u32 v0, v16, 2, v0
	ds_read_b32 v0, v0 offset:4
	s_waitcnt lgkmcnt(1)
	v_add_u32_e32 v17, 1, v16
	v_mov_b32_e32 v1, v14
	v_mov_b32_e32 v18, v19
	;; [unrolled: 1-line block ×4, first 2 shown]
	s_waitcnt lgkmcnt(0)
	v_mov_b32_e32 v14, v0
.LBB22_140:
	s_or_b64 exec, exec, s[8:9]
	v_cndmask_b32_e64 v11, v10, v11, s[4:5]
	v_cndmask_b32_e64 v10, v8, v9, s[2:3]
	;; [unrolled: 1-line block ×3, first 2 shown]
	s_movk_i32 s0, 0xe0
	v_cndmask_b32_e32 v8, v2, v3, vcc
	v_cmp_gt_i32_e32 vcc, s0, v16
	s_movk_i32 s0, 0x6f
	v_cmp_lt_i32_e64 s[0:1], s0, v18
	s_waitcnt lgkmcnt(0)
	v_cmp_gt_i32_e64 s[2:3], v14, v17
	s_or_b64 s[0:1], s[0:1], s[2:3]
	s_and_b64 vcc, vcc, s[0:1]
	v_cndmask_b32_e64 v0, v12, v13, s[6:7]
	v_cndmask_b32_e32 v2, v17, v14, vcc
	global_store_dwordx4 v[4:5], v[8:11], off
	global_store_dwordx3 v[4:5], v[0:2], off offset:16
	s_endpgm
	.section	.rodata,"a",@progbits
	.p2align	6, 0x0
	.amdhsa_kernel _Z14sort_keys_fullILj256ELj32ELj7ELb0EiN10test_utils7greaterEEvPT3_T4_
		.amdhsa_group_segment_fixed_size 7200
		.amdhsa_private_segment_fixed_size 0
		.amdhsa_kernarg_size 12
		.amdhsa_user_sgpr_count 6
		.amdhsa_user_sgpr_private_segment_buffer 1
		.amdhsa_user_sgpr_dispatch_ptr 0
		.amdhsa_user_sgpr_queue_ptr 0
		.amdhsa_user_sgpr_kernarg_segment_ptr 1
		.amdhsa_user_sgpr_dispatch_id 0
		.amdhsa_user_sgpr_flat_scratch_init 0
		.amdhsa_user_sgpr_kernarg_preload_length 0
		.amdhsa_user_sgpr_kernarg_preload_offset 0
		.amdhsa_user_sgpr_private_segment_size 0
		.amdhsa_uses_dynamic_stack 0
		.amdhsa_system_sgpr_private_segment_wavefront_offset 0
		.amdhsa_system_sgpr_workgroup_id_x 1
		.amdhsa_system_sgpr_workgroup_id_y 0
		.amdhsa_system_sgpr_workgroup_id_z 0
		.amdhsa_system_sgpr_workgroup_info 0
		.amdhsa_system_vgpr_workitem_id 0
		.amdhsa_next_free_vgpr 26
		.amdhsa_next_free_sgpr 14
		.amdhsa_accum_offset 28
		.amdhsa_reserve_vcc 1
		.amdhsa_reserve_flat_scratch 0
		.amdhsa_float_round_mode_32 0
		.amdhsa_float_round_mode_16_64 0
		.amdhsa_float_denorm_mode_32 3
		.amdhsa_float_denorm_mode_16_64 3
		.amdhsa_dx10_clamp 1
		.amdhsa_ieee_mode 1
		.amdhsa_fp16_overflow 0
		.amdhsa_tg_split 0
		.amdhsa_exception_fp_ieee_invalid_op 0
		.amdhsa_exception_fp_denorm_src 0
		.amdhsa_exception_fp_ieee_div_zero 0
		.amdhsa_exception_fp_ieee_overflow 0
		.amdhsa_exception_fp_ieee_underflow 0
		.amdhsa_exception_fp_ieee_inexact 0
		.amdhsa_exception_int_div_zero 0
	.end_amdhsa_kernel
	.section	.text._Z14sort_keys_fullILj256ELj32ELj7ELb0EiN10test_utils7greaterEEvPT3_T4_,"axG",@progbits,_Z14sort_keys_fullILj256ELj32ELj7ELb0EiN10test_utils7greaterEEvPT3_T4_,comdat
.Lfunc_end22:
	.size	_Z14sort_keys_fullILj256ELj32ELj7ELb0EiN10test_utils7greaterEEvPT3_T4_, .Lfunc_end22-_Z14sort_keys_fullILj256ELj32ELj7ELb0EiN10test_utils7greaterEEvPT3_T4_
                                        ; -- End function
	.section	.AMDGPU.csdata,"",@progbits
; Kernel info:
; codeLenInByte = 6292
; NumSgprs: 18
; NumVgprs: 26
; NumAgprs: 0
; TotalNumVgprs: 26
; ScratchSize: 0
; MemoryBound: 0
; FloatMode: 240
; IeeeMode: 1
; LDSByteSize: 7200 bytes/workgroup (compile time only)
; SGPRBlocks: 2
; VGPRBlocks: 3
; NumSGPRsForWavesPerEU: 18
; NumVGPRsForWavesPerEU: 26
; AccumOffset: 28
; Occupancy: 8
; WaveLimiterHint : 0
; COMPUTE_PGM_RSRC2:SCRATCH_EN: 0
; COMPUTE_PGM_RSRC2:USER_SGPR: 6
; COMPUTE_PGM_RSRC2:TRAP_HANDLER: 0
; COMPUTE_PGM_RSRC2:TGID_X_EN: 1
; COMPUTE_PGM_RSRC2:TGID_Y_EN: 0
; COMPUTE_PGM_RSRC2:TGID_Z_EN: 0
; COMPUTE_PGM_RSRC2:TIDIG_COMP_CNT: 0
; COMPUTE_PGM_RSRC3_GFX90A:ACCUM_OFFSET: 6
; COMPUTE_PGM_RSRC3_GFX90A:TG_SPLIT: 0
	.section	.text._Z14sort_keys_fullILj256ELj8ELj4ELb1ExN10test_utils4lessEEvPT3_T4_,"axG",@progbits,_Z14sort_keys_fullILj256ELj8ELj4ELb1ExN10test_utils4lessEEvPT3_T4_,comdat
	.protected	_Z14sort_keys_fullILj256ELj8ELj4ELb1ExN10test_utils4lessEEvPT3_T4_ ; -- Begin function _Z14sort_keys_fullILj256ELj8ELj4ELb1ExN10test_utils4lessEEvPT3_T4_
	.globl	_Z14sort_keys_fullILj256ELj8ELj4ELb1ExN10test_utils4lessEEvPT3_T4_
	.p2align	8
	.type	_Z14sort_keys_fullILj256ELj8ELj4ELb1ExN10test_utils4lessEEvPT3_T4_,@function
_Z14sort_keys_fullILj256ELj8ELj4ELb1ExN10test_utils4lessEEvPT3_T4_: ; @_Z14sort_keys_fullILj256ELj8ELj4ELb1ExN10test_utils4lessEEvPT3_T4_
; %bb.0:
	s_load_dwordx2 s[0:1], s[4:5], 0x0
	s_lshl_b32 s2, s6, 10
	s_mov_b32 s3, 0
	s_lshl_b64 s[2:3], s[2:3], 3
	v_lshlrev_b32_e32 v3, 5, v0
	s_waitcnt lgkmcnt(0)
	s_add_u32 s0, s0, s2
	s_addc_u32 s1, s1, s3
	global_load_dwordx4 v[12:15], v3, s[0:1]
	global_load_dwordx4 v[24:27], v3, s[0:1] offset:16
	v_mbcnt_lo_u32_b32 v1, -1, 0
	v_mbcnt_hi_u32_b32 v1, -1, v1
	v_lshlrev_b32_e32 v21, 2, v1
	v_and_b32_e32 v10, 24, v21
	v_or_b32_e32 v22, 4, v10
	v_add_u32_e32 v23, 8, v10
	v_and_b32_e32 v18, 28, v21
	v_and_b32_e32 v6, 4, v21
	v_sub_u32_e32 v5, v23, v22
	s_movk_i32 s2, 0x108
	v_lshrrev_b32_e32 v0, 3, v0
	v_lshlrev_b32_e32 v1, 3, v18
	v_lshlrev_b32_e32 v2, 3, v10
	v_sub_u32_e32 v4, v22, v10
	v_sub_u32_e32 v7, v6, v5
	v_cmp_ge_i32_e32 vcc, v6, v5
	v_mad_u32_u24 v20, v0, s2, v1
	v_mad_u32_u24 v1, v0, s2, v2
	v_min_i32_e32 v2, v6, v4
	v_cndmask_b32_e32 v11, 0, v7, vcc
	v_mov_b32_e32 v5, s1
	v_add_co_u32_e32 v4, vcc, s0, v3
	v_addc_co_u32_e32 v5, vcc, 0, v5, vcc
	; wave barrier
	s_waitcnt vmcnt(1)
	v_cmp_lt_i64_e32 vcc, v[14:15], v[12:13]
	v_cmp_gt_i64_e64 s[0:1], v[14:15], v[12:13]
	s_waitcnt vmcnt(0)
	v_cmp_lt_i64_e64 s[2:3], v[26:27], v[24:25]
	v_cndmask_b32_e32 v3, v14, v12, vcc
	v_cndmask_b32_e64 v9, v13, v15, s[0:1]
	v_cndmask_b32_e32 v19, v15, v13, vcc
	v_cndmask_b32_e32 v29, v13, v15, vcc
	v_cndmask_b32_e32 v28, v12, v14, vcc
	v_cndmask_b32_e64 v8, v12, v14, s[0:1]
	v_cndmask_b32_e64 v13, v25, v27, s[2:3]
	;; [unrolled: 1-line block ×3, first 2 shown]
	v_cmp_gt_i64_e64 s[4:5], v[26:27], v[24:25]
	v_cmp_lt_i64_e32 vcc, v[12:13], v[8:9]
	v_cndmask_b32_e64 v7, v26, v24, s[2:3]
	v_cndmask_b32_e64 v17, v25, v27, s[4:5]
	;; [unrolled: 1-line block ×4, first 2 shown]
	v_cndmask_b32_e32 v24, v13, v9, vcc
	v_cmp_gt_i64_e64 s[0:1], v[12:13], v[8:9]
	v_cndmask_b32_e32 v26, v12, v8, vcc
	v_cndmask_b32_e32 v14, v19, v13, vcc
	;; [unrolled: 1-line block ×5, first 2 shown]
	v_cmp_lt_i64_e32 vcc, v[12:13], v[28:29]
	v_cndmask_b32_e64 v25, v8, v12, s[0:1]
	v_cndmask_b32_e64 v19, v9, v13, s[0:1]
	v_cndmask_b32_e32 v13, v29, v15, vcc
	v_cndmask_b32_e32 v12, v28, v27, vcc
	;; [unrolled: 1-line block ×6, first 2 shown]
	v_cmp_gt_i64_e32 vcc, v[8:9], v[16:17]
	v_cndmask_b32_e32 v8, v7, v25, vcc
	v_cndmask_b32_e32 v7, v26, v16, vcc
	;; [unrolled: 1-line block ×6, first 2 shown]
	v_cmp_lt_i64_e32 vcc, v[16:17], v[14:15]
	v_cndmask_b32_e32 v15, v24, v15, vcc
	v_cndmask_b32_e32 v14, v7, v14, vcc
	;; [unrolled: 1-line block ×4, first 2 shown]
	v_cmp_lt_i32_e32 vcc, v11, v2
	ds_write2_b64 v20, v[12:13], v[16:17] offset1:1
	ds_write2_b64 v20, v[14:15], v[8:9] offset0:2 offset1:3
	; wave barrier
	s_and_saveexec_b64 s[0:1], vcc
	s_cbranch_execz .LBB23_4
; %bb.1:
	v_lshlrev_b32_e32 v3, 3, v6
	v_add3_u32 v3, v1, v3, 32
	s_mov_b64 s[2:3], 0
.LBB23_2:                               ; =>This Inner Loop Header: Depth=1
	v_sub_u32_e32 v7, v2, v11
	v_lshrrev_b32_e32 v8, 31, v7
	v_add_u32_e32 v7, v7, v8
	v_ashrrev_i32_e32 v7, 1, v7
	v_add_u32_e32 v7, v7, v11
	v_not_b32_e32 v9, v7
	v_lshl_add_u32 v8, v7, 3, v1
	v_lshl_add_u32 v12, v9, 3, v3
	ds_read_b64 v[8:9], v8
	ds_read_b64 v[12:13], v12
	v_add_u32_e32 v14, 1, v7
	s_waitcnt lgkmcnt(0)
	v_cmp_lt_i64_e32 vcc, v[12:13], v[8:9]
	v_cndmask_b32_e32 v2, v2, v7, vcc
	v_cndmask_b32_e32 v11, v14, v11, vcc
	v_cmp_ge_i32_e32 vcc, v11, v2
	s_or_b64 s[2:3], vcc, s[2:3]
	s_andn2_b64 exec, exec, s[2:3]
	s_cbranch_execnz .LBB23_2
; %bb.3:
	s_or_b64 exec, exec, s[2:3]
.LBB23_4:
	s_or_b64 exec, exec, s[0:1]
	v_mul_u32_u24_e32 v19, 0x108, v0
	v_add_u32_e32 v0, v10, v6
	v_lshl_add_u32 v8, v11, 3, v1
	v_sub_u32_e32 v0, v0, v11
	v_lshl_add_u32 v13, v0, 3, v19
	ds_read_b64 v[0:1], v8
	ds_read_b64 v[2:3], v13 offset:32
	v_add_u32_e32 v6, v22, v6
	v_sub_u32_e32 v12, v6, v11
	v_cmp_lt_i32_e64 s[0:1], 3, v11
	v_cmp_gt_i32_e32 vcc, v23, v12
	s_waitcnt lgkmcnt(0)
	v_cmp_lt_i64_e64 s[2:3], v[2:3], v[0:1]
	s_or_b64 s[0:1], s[0:1], s[2:3]
	s_and_b64 vcc, vcc, s[0:1]
	s_xor_b64 s[0:1], vcc, -1
                                        ; implicit-def: $vgpr6_vgpr7
	s_and_saveexec_b64 s[2:3], s[0:1]
	s_xor_b64 s[0:1], exec, s[2:3]
	s_cbranch_execz .LBB23_6
; %bb.5:
	ds_read_b64 v[6:7], v8 offset:8
                                        ; implicit-def: $vgpr13
.LBB23_6:
	s_or_saveexec_b64 s[0:1], s[0:1]
	v_pk_mov_b32 v[8:9], v[2:3], v[2:3] op_sel:[0,1]
	s_xor_b64 exec, exec, s[0:1]
	s_cbranch_execz .LBB23_8
; %bb.7:
	ds_read_b64 v[8:9], v13 offset:40
	s_waitcnt lgkmcnt(1)
	v_pk_mov_b32 v[6:7], v[0:1], v[0:1] op_sel:[0,1]
.LBB23_8:
	s_or_b64 exec, exec, s[0:1]
	v_add_u32_e32 v10, v11, v10
	v_add_u32_e32 v13, 1, v10
	;; [unrolled: 1-line block ×3, first 2 shown]
	v_cndmask_b32_e32 v15, v13, v10, vcc
	v_cndmask_b32_e32 v14, v12, v11, vcc
	v_cmp_ge_i32_e64 s[2:3], v15, v22
	s_waitcnt lgkmcnt(0)
	v_cmp_lt_i64_e64 s[4:5], v[8:9], v[6:7]
	v_cmp_lt_i32_e64 s[0:1], v14, v23
	s_or_b64 s[2:3], s[2:3], s[4:5]
	s_and_b64 s[0:1], s[0:1], s[2:3]
	s_xor_b64 s[2:3], s[0:1], -1
                                        ; implicit-def: $vgpr10_vgpr11
	s_and_saveexec_b64 s[4:5], s[2:3]
	s_xor_b64 s[2:3], exec, s[4:5]
	s_cbranch_execz .LBB23_10
; %bb.9:
	v_lshl_add_u32 v10, v15, 3, v19
	ds_read_b64 v[10:11], v10 offset:8
.LBB23_10:
	s_or_saveexec_b64 s[2:3], s[2:3]
	v_pk_mov_b32 v[12:13], v[8:9], v[8:9] op_sel:[0,1]
	s_xor_b64 exec, exec, s[2:3]
	s_cbranch_execz .LBB23_12
; %bb.11:
	s_waitcnt lgkmcnt(0)
	v_lshl_add_u32 v10, v14, 3, v19
	ds_read_b64 v[12:13], v10 offset:8
	v_pk_mov_b32 v[10:11], v[6:7], v[6:7] op_sel:[0,1]
.LBB23_12:
	s_or_b64 exec, exec, s[2:3]
	v_add_u32_e32 v17, 1, v15
	v_add_u32_e32 v16, 1, v14
	v_cndmask_b32_e64 v25, v17, v15, s[0:1]
	v_cndmask_b32_e64 v24, v14, v16, s[0:1]
	v_cmp_ge_i32_e64 s[4:5], v25, v22
	s_waitcnt lgkmcnt(0)
	v_cmp_lt_i64_e64 s[6:7], v[12:13], v[10:11]
	v_cmp_lt_i32_e64 s[2:3], v24, v23
	s_or_b64 s[4:5], s[4:5], s[6:7]
	s_and_b64 s[2:3], s[2:3], s[4:5]
	s_xor_b64 s[4:5], s[2:3], -1
                                        ; implicit-def: $vgpr14_vgpr15
	s_and_saveexec_b64 s[6:7], s[4:5]
	s_xor_b64 s[4:5], exec, s[6:7]
	s_cbranch_execz .LBB23_14
; %bb.13:
	v_lshl_add_u32 v14, v25, 3, v19
	ds_read_b64 v[14:15], v14 offset:8
.LBB23_14:
	s_or_saveexec_b64 s[4:5], s[4:5]
	v_pk_mov_b32 v[16:17], v[12:13], v[12:13] op_sel:[0,1]
	s_xor_b64 exec, exec, s[4:5]
	s_cbranch_execz .LBB23_16
; %bb.15:
	s_waitcnt lgkmcnt(0)
	v_lshl_add_u32 v14, v24, 3, v19
	ds_read_b64 v[16:17], v14 offset:8
	v_pk_mov_b32 v[14:15], v[10:11], v[10:11] op_sel:[0,1]
.LBB23_16:
	s_or_b64 exec, exec, s[4:5]
	v_cndmask_b32_e64 v11, v11, v13, s[2:3]
	v_add_u32_e32 v13, 1, v25
	v_cndmask_b32_e64 v10, v10, v12, s[2:3]
	v_add_u32_e32 v12, 1, v24
	v_cndmask_b32_e64 v13, v13, v25, s[2:3]
	v_cndmask_b32_e64 v12, v24, v12, s[2:3]
	;; [unrolled: 1-line block ×4, first 2 shown]
	v_cmp_ge_i32_e64 s[0:1], v13, v22
	s_waitcnt lgkmcnt(0)
	v_cmp_lt_i64_e64 s[2:3], v[16:17], v[14:15]
	v_cndmask_b32_e32 v1, v1, v3, vcc
	v_cndmask_b32_e32 v0, v0, v2, vcc
	v_cmp_lt_i32_e32 vcc, v12, v23
	s_or_b64 s[0:1], s[0:1], s[2:3]
	s_and_b64 vcc, vcc, s[0:1]
	v_cndmask_b32_e32 v3, v15, v17, vcc
	v_cndmask_b32_e32 v2, v14, v16, vcc
	; wave barrier
	ds_write2_b64 v20, v[0:1], v[6:7] offset1:1
	ds_write2_b64 v20, v[10:11], v[2:3] offset0:2 offset1:3
	v_and_b32_e32 v10, 16, v21
	v_and_b32_e32 v6, 12, v21
	v_or_b32_e32 v21, 8, v10
	v_add_u32_e32 v22, 16, v10
	v_sub_u32_e32 v2, v22, v21
	v_sub_u32_e32 v1, v21, v10
	v_sub_u32_e32 v3, v6, v2
	v_cmp_ge_i32_e32 vcc, v6, v2
	v_cndmask_b32_e32 v11, 0, v3, vcc
	v_min_i32_e32 v1, v6, v1
	v_lshl_add_u32 v0, v10, 3, v19
	v_cmp_lt_i32_e32 vcc, v11, v1
	; wave barrier
	s_and_saveexec_b64 s[0:1], vcc
	s_cbranch_execz .LBB23_20
; %bb.17:
	v_lshlrev_b32_e32 v2, 3, v6
	v_add3_u32 v2, v0, v2, 64
	s_mov_b64 s[2:3], 0
.LBB23_18:                              ; =>This Inner Loop Header: Depth=1
	v_sub_u32_e32 v3, v1, v11
	v_lshrrev_b32_e32 v7, 31, v3
	v_add_u32_e32 v3, v3, v7
	v_ashrrev_i32_e32 v3, 1, v3
	v_add_u32_e32 v3, v3, v11
	v_not_b32_e32 v8, v3
	v_lshl_add_u32 v7, v3, 3, v0
	v_lshl_add_u32 v12, v8, 3, v2
	ds_read_b64 v[8:9], v7
	ds_read_b64 v[12:13], v12
	v_add_u32_e32 v7, 1, v3
	s_waitcnt lgkmcnt(0)
	v_cmp_lt_i64_e32 vcc, v[12:13], v[8:9]
	v_cndmask_b32_e32 v1, v1, v3, vcc
	v_cndmask_b32_e32 v11, v7, v11, vcc
	v_cmp_ge_i32_e32 vcc, v11, v1
	s_or_b64 s[2:3], vcc, s[2:3]
	s_andn2_b64 exec, exec, s[2:3]
	s_cbranch_execnz .LBB23_18
; %bb.19:
	s_or_b64 exec, exec, s[2:3]
.LBB23_20:
	s_or_b64 exec, exec, s[0:1]
	v_lshl_add_u32 v8, v11, 3, v0
	v_add_u32_e32 v0, v10, v6
	v_sub_u32_e32 v0, v0, v11
	v_lshl_add_u32 v13, v0, 3, v19
	ds_read_b64 v[0:1], v8
	ds_read_b64 v[2:3], v13 offset:64
	v_add_u32_e32 v6, v21, v6
	v_sub_u32_e32 v12, v6, v11
	v_cmp_lt_i32_e64 s[0:1], 7, v11
	v_cmp_gt_i32_e32 vcc, v22, v12
	s_waitcnt lgkmcnt(0)
	v_cmp_lt_i64_e64 s[2:3], v[2:3], v[0:1]
	s_or_b64 s[0:1], s[0:1], s[2:3]
	s_and_b64 vcc, vcc, s[0:1]
	s_xor_b64 s[0:1], vcc, -1
                                        ; implicit-def: $vgpr6_vgpr7
	s_and_saveexec_b64 s[2:3], s[0:1]
	s_xor_b64 s[0:1], exec, s[2:3]
	s_cbranch_execz .LBB23_22
; %bb.21:
	ds_read_b64 v[6:7], v8 offset:8
                                        ; implicit-def: $vgpr13
.LBB23_22:
	s_or_saveexec_b64 s[0:1], s[0:1]
	v_pk_mov_b32 v[8:9], v[2:3], v[2:3] op_sel:[0,1]
	s_xor_b64 exec, exec, s[0:1]
	s_cbranch_execz .LBB23_24
; %bb.23:
	ds_read_b64 v[8:9], v13 offset:72
	s_waitcnt lgkmcnt(1)
	v_pk_mov_b32 v[6:7], v[0:1], v[0:1] op_sel:[0,1]
.LBB23_24:
	s_or_b64 exec, exec, s[0:1]
	v_add_u32_e32 v10, v11, v10
	v_add_u32_e32 v13, 1, v10
	;; [unrolled: 1-line block ×3, first 2 shown]
	v_cndmask_b32_e32 v15, v13, v10, vcc
	v_cndmask_b32_e32 v14, v12, v11, vcc
	v_cmp_ge_i32_e64 s[2:3], v15, v21
	s_waitcnt lgkmcnt(0)
	v_cmp_lt_i64_e64 s[4:5], v[8:9], v[6:7]
	v_cmp_lt_i32_e64 s[0:1], v14, v22
	s_or_b64 s[2:3], s[2:3], s[4:5]
	s_and_b64 s[0:1], s[0:1], s[2:3]
	s_xor_b64 s[2:3], s[0:1], -1
                                        ; implicit-def: $vgpr10_vgpr11
	s_and_saveexec_b64 s[4:5], s[2:3]
	s_xor_b64 s[2:3], exec, s[4:5]
	s_cbranch_execz .LBB23_26
; %bb.25:
	v_lshl_add_u32 v10, v15, 3, v19
	ds_read_b64 v[10:11], v10 offset:8
.LBB23_26:
	s_or_saveexec_b64 s[2:3], s[2:3]
	v_pk_mov_b32 v[12:13], v[8:9], v[8:9] op_sel:[0,1]
	s_xor_b64 exec, exec, s[2:3]
	s_cbranch_execz .LBB23_28
; %bb.27:
	s_waitcnt lgkmcnt(0)
	v_lshl_add_u32 v10, v14, 3, v19
	ds_read_b64 v[12:13], v10 offset:8
	v_pk_mov_b32 v[10:11], v[6:7], v[6:7] op_sel:[0,1]
.LBB23_28:
	s_or_b64 exec, exec, s[2:3]
	v_add_u32_e32 v17, 1, v15
	v_add_u32_e32 v16, 1, v14
	v_cndmask_b32_e64 v24, v17, v15, s[0:1]
	v_cndmask_b32_e64 v23, v14, v16, s[0:1]
	v_cmp_ge_i32_e64 s[4:5], v24, v21
	s_waitcnt lgkmcnt(0)
	v_cmp_lt_i64_e64 s[6:7], v[12:13], v[10:11]
	v_cmp_lt_i32_e64 s[2:3], v23, v22
	s_or_b64 s[4:5], s[4:5], s[6:7]
	s_and_b64 s[2:3], s[2:3], s[4:5]
	s_xor_b64 s[4:5], s[2:3], -1
                                        ; implicit-def: $vgpr14_vgpr15
	s_and_saveexec_b64 s[6:7], s[4:5]
	s_xor_b64 s[4:5], exec, s[6:7]
	s_cbranch_execz .LBB23_30
; %bb.29:
	v_lshl_add_u32 v14, v24, 3, v19
	ds_read_b64 v[14:15], v14 offset:8
.LBB23_30:
	s_or_saveexec_b64 s[4:5], s[4:5]
	v_pk_mov_b32 v[16:17], v[12:13], v[12:13] op_sel:[0,1]
	s_xor_b64 exec, exec, s[4:5]
	s_cbranch_execz .LBB23_32
; %bb.31:
	s_waitcnt lgkmcnt(0)
	v_lshl_add_u32 v14, v23, 3, v19
	ds_read_b64 v[16:17], v14 offset:8
	v_pk_mov_b32 v[14:15], v[10:11], v[10:11] op_sel:[0,1]
.LBB23_32:
	s_or_b64 exec, exec, s[4:5]
	v_cndmask_b32_e64 v11, v11, v13, s[2:3]
	v_add_u32_e32 v13, 1, v24
	v_cndmask_b32_e64 v10, v10, v12, s[2:3]
	v_add_u32_e32 v12, 1, v23
	v_cndmask_b32_e64 v13, v13, v24, s[2:3]
	v_cndmask_b32_e64 v12, v23, v12, s[2:3]
	;; [unrolled: 1-line block ×4, first 2 shown]
	v_cmp_ge_i32_e64 s[0:1], v13, v21
	s_waitcnt lgkmcnt(0)
	v_cmp_lt_i64_e64 s[2:3], v[16:17], v[14:15]
	v_cndmask_b32_e32 v1, v1, v3, vcc
	v_cndmask_b32_e32 v0, v0, v2, vcc
	v_cmp_lt_i32_e32 vcc, v12, v22
	s_or_b64 s[0:1], s[0:1], s[2:3]
	s_and_b64 vcc, vcc, s[0:1]
	v_cndmask_b32_e32 v3, v15, v17, vcc
	v_cndmask_b32_e32 v2, v14, v16, vcc
	; wave barrier
	ds_write2_b64 v20, v[0:1], v[6:7] offset1:1
	ds_write2_b64 v20, v[10:11], v[2:3] offset0:2 offset1:3
	v_sub_u32_e64 v0, v18, 16 clamp
	v_min_i32_e32 v1, 16, v18
	v_cmp_lt_u32_e32 vcc, v0, v1
	; wave barrier
	s_and_saveexec_b64 s[0:1], vcc
	s_cbranch_execz .LBB23_36
; %bb.33:
	v_add_u32_e32 v2, 0x80, v20
	s_mov_b64 s[2:3], 0
.LBB23_34:                              ; =>This Inner Loop Header: Depth=1
	v_sub_u32_e32 v3, v1, v0
	v_lshrrev_b32_e32 v6, 31, v3
	v_add_u32_e32 v3, v3, v6
	v_ashrrev_i32_e32 v3, 1, v3
	v_add_u32_e32 v3, v3, v0
	v_not_b32_e32 v7, v3
	v_lshl_add_u32 v6, v3, 3, v19
	v_lshl_add_u32 v8, v7, 3, v2
	ds_read_b64 v[6:7], v6
	ds_read_b64 v[8:9], v8
	v_add_u32_e32 v10, 1, v3
	s_waitcnt lgkmcnt(0)
	v_cmp_lt_i64_e32 vcc, v[8:9], v[6:7]
	v_cndmask_b32_e32 v1, v1, v3, vcc
	v_cndmask_b32_e32 v0, v10, v0, vcc
	v_cmp_ge_i32_e32 vcc, v0, v1
	s_or_b64 s[2:3], vcc, s[2:3]
	s_andn2_b64 exec, exec, s[2:3]
	s_cbranch_execnz .LBB23_34
; %bb.35:
	s_or_b64 exec, exec, s[2:3]
.LBB23_36:
	s_or_b64 exec, exec, s[0:1]
	v_sub_u32_e32 v1, v18, v0
	v_lshl_add_u32 v10, v0, 3, v19
	v_lshl_add_u32 v12, v1, 3, v19
	ds_read_b64 v[2:3], v10
	ds_read_b64 v[6:7], v12 offset:128
	v_add_u32_e32 v1, 16, v1
	v_cmp_lt_i32_e64 s[0:1], 15, v0
	v_cmp_gt_i32_e32 vcc, 32, v1
                                        ; implicit-def: $vgpr8_vgpr9
	s_waitcnt lgkmcnt(0)
	v_cmp_lt_i64_e64 s[2:3], v[6:7], v[2:3]
	s_or_b64 s[0:1], s[0:1], s[2:3]
	s_and_b64 vcc, vcc, s[0:1]
	s_xor_b64 s[0:1], vcc, -1
	s_and_saveexec_b64 s[2:3], s[0:1]
	s_xor_b64 s[0:1], exec, s[2:3]
	s_cbranch_execz .LBB23_38
; %bb.37:
	ds_read_b64 v[8:9], v10 offset:8
                                        ; implicit-def: $vgpr12
.LBB23_38:
	s_or_saveexec_b64 s[0:1], s[0:1]
	v_pk_mov_b32 v[10:11], v[6:7], v[6:7] op_sel:[0,1]
	s_xor_b64 exec, exec, s[0:1]
	s_cbranch_execz .LBB23_40
; %bb.39:
	ds_read_b64 v[10:11], v12 offset:136
	s_waitcnt lgkmcnt(1)
	v_pk_mov_b32 v[8:9], v[2:3], v[2:3] op_sel:[0,1]
.LBB23_40:
	s_or_b64 exec, exec, s[0:1]
	v_add_u32_e32 v13, 1, v0
	v_add_u32_e32 v12, 1, v1
	v_cndmask_b32_e32 v0, v13, v0, vcc
	v_cndmask_b32_e32 v1, v1, v12, vcc
	v_cmp_lt_i32_e64 s[2:3], 15, v0
	s_waitcnt lgkmcnt(0)
	v_cmp_lt_i64_e64 s[4:5], v[10:11], v[8:9]
	v_cmp_gt_i32_e64 s[0:1], 32, v1
	s_or_b64 s[2:3], s[2:3], s[4:5]
	s_and_b64 s[0:1], s[0:1], s[2:3]
	s_xor_b64 s[2:3], s[0:1], -1
                                        ; implicit-def: $vgpr12_vgpr13
	s_and_saveexec_b64 s[4:5], s[2:3]
	s_xor_b64 s[2:3], exec, s[4:5]
	s_cbranch_execz .LBB23_42
; %bb.41:
	v_lshl_add_u32 v12, v0, 3, v19
	ds_read_b64 v[12:13], v12 offset:8
.LBB23_42:
	s_or_saveexec_b64 s[2:3], s[2:3]
	v_pk_mov_b32 v[14:15], v[10:11], v[10:11] op_sel:[0,1]
	s_xor_b64 exec, exec, s[2:3]
	s_cbranch_execz .LBB23_44
; %bb.43:
	s_waitcnt lgkmcnt(0)
	v_lshl_add_u32 v12, v1, 3, v19
	ds_read_b64 v[14:15], v12 offset:8
	v_pk_mov_b32 v[12:13], v[8:9], v[8:9] op_sel:[0,1]
.LBB23_44:
	s_or_b64 exec, exec, s[2:3]
	v_add_u32_e32 v17, 1, v0
	v_add_u32_e32 v16, 1, v1
	v_cndmask_b32_e64 v21, v17, v0, s[0:1]
	v_cndmask_b32_e64 v18, v1, v16, s[0:1]
	v_cmp_gt_i32_e64 s[4:5], 16, v21
	s_waitcnt lgkmcnt(0)
	v_cmp_ge_i64_e64 s[6:7], v[14:15], v[12:13]
	v_cmp_lt_i32_e64 s[2:3], 31, v18
	s_and_b64 s[4:5], s[4:5], s[6:7]
	s_or_b64 s[2:3], s[2:3], s[4:5]
                                        ; implicit-def: $vgpr16_vgpr17
                                        ; implicit-def: $vgpr20
	s_and_saveexec_b64 s[4:5], s[2:3]
	s_xor_b64 s[2:3], exec, s[4:5]
	s_cbranch_execz .LBB23_46
; %bb.45:
	v_lshl_add_u32 v0, v21, 3, v19
	ds_read_b64 v[16:17], v0 offset:8
	v_add_u32_e32 v20, 1, v21
                                        ; implicit-def: $vgpr21
                                        ; implicit-def: $vgpr19
.LBB23_46:
	s_or_saveexec_b64 s[2:3], s[2:3]
	v_pk_mov_b32 v[0:1], v[12:13], v[12:13] op_sel:[0,1]
	s_xor_b64 exec, exec, s[2:3]
	s_cbranch_execz .LBB23_48
; %bb.47:
	v_lshl_add_u32 v0, v18, 3, v19
	ds_read_b64 v[22:23], v0 offset:8
	s_waitcnt lgkmcnt(1)
	v_add_u32_e32 v16, 1, v18
	v_pk_mov_b32 v[0:1], v[14:15], v[14:15] op_sel:[0,1]
	v_mov_b32_e32 v20, v21
	v_mov_b32_e32 v18, v16
	v_pk_mov_b32 v[16:17], v[12:13], v[12:13] op_sel:[0,1]
	s_waitcnt lgkmcnt(0)
	v_pk_mov_b32 v[14:15], v[22:23], v[22:23] op_sel:[0,1]
.LBB23_48:
	s_or_b64 exec, exec, s[2:3]
	v_cndmask_b32_e64 v9, v9, v11, s[0:1]
	v_cndmask_b32_e64 v8, v8, v10, s[0:1]
	v_cmp_lt_i32_e64 s[0:1], 15, v20
	s_waitcnt lgkmcnt(0)
	v_cmp_lt_i64_e64 s[2:3], v[14:15], v[16:17]
	v_cndmask_b32_e32 v7, v3, v7, vcc
	v_cndmask_b32_e32 v6, v2, v6, vcc
	v_cmp_gt_i32_e32 vcc, 32, v18
	s_or_b64 s[0:1], s[0:1], s[2:3]
	s_and_b64 vcc, vcc, s[0:1]
	v_cndmask_b32_e32 v3, v17, v15, vcc
	v_cndmask_b32_e32 v2, v16, v14, vcc
	global_store_dwordx4 v[4:5], v[6:9], off
	global_store_dwordx4 v[4:5], v[0:3], off offset:16
	s_endpgm
	.section	.rodata,"a",@progbits
	.p2align	6, 0x0
	.amdhsa_kernel _Z14sort_keys_fullILj256ELj8ELj4ELb1ExN10test_utils4lessEEvPT3_T4_
		.amdhsa_group_segment_fixed_size 8448
		.amdhsa_private_segment_fixed_size 0
		.amdhsa_kernarg_size 12
		.amdhsa_user_sgpr_count 6
		.amdhsa_user_sgpr_private_segment_buffer 1
		.amdhsa_user_sgpr_dispatch_ptr 0
		.amdhsa_user_sgpr_queue_ptr 0
		.amdhsa_user_sgpr_kernarg_segment_ptr 1
		.amdhsa_user_sgpr_dispatch_id 0
		.amdhsa_user_sgpr_flat_scratch_init 0
		.amdhsa_user_sgpr_kernarg_preload_length 0
		.amdhsa_user_sgpr_kernarg_preload_offset 0
		.amdhsa_user_sgpr_private_segment_size 0
		.amdhsa_uses_dynamic_stack 0
		.amdhsa_system_sgpr_private_segment_wavefront_offset 0
		.amdhsa_system_sgpr_workgroup_id_x 1
		.amdhsa_system_sgpr_workgroup_id_y 0
		.amdhsa_system_sgpr_workgroup_id_z 0
		.amdhsa_system_sgpr_workgroup_info 0
		.amdhsa_system_vgpr_workitem_id 0
		.amdhsa_next_free_vgpr 32
		.amdhsa_next_free_sgpr 8
		.amdhsa_accum_offset 32
		.amdhsa_reserve_vcc 1
		.amdhsa_reserve_flat_scratch 0
		.amdhsa_float_round_mode_32 0
		.amdhsa_float_round_mode_16_64 0
		.amdhsa_float_denorm_mode_32 3
		.amdhsa_float_denorm_mode_16_64 3
		.amdhsa_dx10_clamp 1
		.amdhsa_ieee_mode 1
		.amdhsa_fp16_overflow 0
		.amdhsa_tg_split 0
		.amdhsa_exception_fp_ieee_invalid_op 0
		.amdhsa_exception_fp_denorm_src 0
		.amdhsa_exception_fp_ieee_div_zero 0
		.amdhsa_exception_fp_ieee_overflow 0
		.amdhsa_exception_fp_ieee_underflow 0
		.amdhsa_exception_fp_ieee_inexact 0
		.amdhsa_exception_int_div_zero 0
	.end_amdhsa_kernel
	.section	.text._Z14sort_keys_fullILj256ELj8ELj4ELb1ExN10test_utils4lessEEvPT3_T4_,"axG",@progbits,_Z14sort_keys_fullILj256ELj8ELj4ELb1ExN10test_utils4lessEEvPT3_T4_,comdat
.Lfunc_end23:
	.size	_Z14sort_keys_fullILj256ELj8ELj4ELb1ExN10test_utils4lessEEvPT3_T4_, .Lfunc_end23-_Z14sort_keys_fullILj256ELj8ELj4ELb1ExN10test_utils4lessEEvPT3_T4_
                                        ; -- End function
	.section	.AMDGPU.csdata,"",@progbits
; Kernel info:
; codeLenInByte = 2508
; NumSgprs: 12
; NumVgprs: 32
; NumAgprs: 0
; TotalNumVgprs: 32
; ScratchSize: 0
; MemoryBound: 0
; FloatMode: 240
; IeeeMode: 1
; LDSByteSize: 8448 bytes/workgroup (compile time only)
; SGPRBlocks: 1
; VGPRBlocks: 3
; NumSGPRsForWavesPerEU: 12
; NumVGPRsForWavesPerEU: 32
; AccumOffset: 32
; Occupancy: 7
; WaveLimiterHint : 0
; COMPUTE_PGM_RSRC2:SCRATCH_EN: 0
; COMPUTE_PGM_RSRC2:USER_SGPR: 6
; COMPUTE_PGM_RSRC2:TRAP_HANDLER: 0
; COMPUTE_PGM_RSRC2:TGID_X_EN: 1
; COMPUTE_PGM_RSRC2:TGID_Y_EN: 0
; COMPUTE_PGM_RSRC2:TGID_Z_EN: 0
; COMPUTE_PGM_RSRC2:TIDIG_COMP_CNT: 0
; COMPUTE_PGM_RSRC3_GFX90A:ACCUM_OFFSET: 7
; COMPUTE_PGM_RSRC3_GFX90A:TG_SPLIT: 0
	.section	.text._Z14sort_keys_fullILj256ELj32ELj8ELb0EN10test_utils16custom_test_typeIfEENS0_4lessEEvPT3_T4_,"axG",@progbits,_Z14sort_keys_fullILj256ELj32ELj8ELb0EN10test_utils16custom_test_typeIfEENS0_4lessEEvPT3_T4_,comdat
	.protected	_Z14sort_keys_fullILj256ELj32ELj8ELb0EN10test_utils16custom_test_typeIfEENS0_4lessEEvPT3_T4_ ; -- Begin function _Z14sort_keys_fullILj256ELj32ELj8ELb0EN10test_utils16custom_test_typeIfEENS0_4lessEEvPT3_T4_
	.globl	_Z14sort_keys_fullILj256ELj32ELj8ELb0EN10test_utils16custom_test_typeIfEENS0_4lessEEvPT3_T4_
	.p2align	8
	.type	_Z14sort_keys_fullILj256ELj32ELj8ELb0EN10test_utils16custom_test_typeIfEENS0_4lessEEvPT3_T4_,@function
_Z14sort_keys_fullILj256ELj32ELj8ELb0EN10test_utils16custom_test_typeIfEENS0_4lessEEvPT3_T4_: ; @_Z14sort_keys_fullILj256ELj32ELj8ELb0EN10test_utils16custom_test_typeIfEENS0_4lessEEvPT3_T4_
; %bb.0:
	s_load_dwordx2 s[0:1], s[4:5], 0x0
	s_lshl_b32 s2, s6, 11
	s_mov_b32 s3, 0
	s_lshl_b64 s[2:3], s[2:3], 3
	v_lshlrev_b32_e32 v1, 6, v0
	s_waitcnt lgkmcnt(0)
	s_add_u32 s0, s0, s2
	s_addc_u32 s1, s1, s3
	global_load_dwordx4 v[4:7], v1, s[0:1]
	global_load_dwordx4 v[8:11], v1, s[0:1] offset:16
	global_load_dwordx4 v[12:15], v1, s[0:1] offset:32
	;; [unrolled: 1-line block ×3, first 2 shown]
	v_lshrrev_b32_e32 v2, 5, v0
	v_mov_b32_e32 v20, s1
	v_add_co_u32_e32 v0, vcc, s0, v1
	v_addc_co_u32_e32 v1, vcc, 0, v20, vcc
	v_mbcnt_lo_u32_b32 v3, -1, 0
	v_mbcnt_hi_u32_b32 v3, -1, v3
	v_lshlrev_b32_e32 v37, 3, v3
	v_and_b32_e32 v35, 0xf8, v37
	s_movk_i32 s22, 0x808
	v_lshlrev_b32_e32 v3, 3, v35
	v_mad_u32_u24 v36, v2, s22, v3
	; wave barrier
	s_waitcnt vmcnt(3)
	v_cmp_neq_f32_e64 s[0:1], v6, v4
	v_cmp_nlt_f32_e64 s[2:3], v7, v5
	s_waitcnt vmcnt(2)
	v_cmp_neq_f32_e64 s[6:7], v10, v8
	v_cmp_nlt_f32_e64 s[8:9], v11, v9
	v_cmp_nlt_f32_e32 vcc, v6, v4
	v_cmp_nlt_f32_e64 s[4:5], v10, v8
	s_waitcnt vmcnt(1)
	v_cmp_neq_f32_e64 s[12:13], v14, v12
	v_cmp_nlt_f32_e64 s[14:15], v15, v13
	s_waitcnt vmcnt(0)
	v_cmp_neq_f32_e64 s[18:19], v18, v16
	v_cmp_nlt_f32_e64 s[20:21], v19, v17
	s_or_b64 s[0:1], s[0:1], s[2:3]
	s_or_b64 s[2:3], s[6:7], s[8:9]
	v_cmp_nlt_f32_e64 s[10:11], v14, v12
	v_cmp_nlt_f32_e64 s[16:17], v18, v16
	s_or_b64 s[6:7], s[12:13], s[14:15]
	s_or_b64 s[8:9], s[18:19], s[20:21]
	s_and_b64 vcc, vcc, s[0:1]
	s_and_b64 s[0:1], s[4:5], s[2:3]
	v_cndmask_b32_e32 v20, v5, v7, vcc
	s_and_b64 s[2:3], s[10:11], s[6:7]
	s_and_b64 s[4:5], s[16:17], s[8:9]
	v_cndmask_b32_e32 v24, v4, v6, vcc
	v_cndmask_b32_e32 v5, v7, v5, vcc
	;; [unrolled: 1-line block ×3, first 2 shown]
	v_cndmask_b32_e64 v6, v8, v10, s[0:1]
	v_cndmask_b32_e64 v7, v11, v9, s[0:1]
	v_cndmask_b32_e64 v8, v10, v8, s[0:1]
	v_cndmask_b32_e64 v21, v9, v11, s[0:1]
	v_cndmask_b32_e64 v22, v13, v15, s[2:3]
	v_cndmask_b32_e64 v23, v19, v17, s[4:5]
	v_cndmask_b32_e64 v9, v12, v14, s[2:3]
	v_cndmask_b32_e64 v10, v15, v13, s[2:3]
	v_cndmask_b32_e64 v11, v14, v12, s[2:3]
	v_cndmask_b32_e64 v12, v18, v16, s[4:5]
	v_cndmask_b32_e64 v13, v17, v19, s[4:5]
	v_cndmask_b32_e64 v14, v16, v18, s[4:5]
	v_cmp_neq_f32_e64 s[2:3], v8, v24
	v_cmp_nlt_f32_e64 s[4:5], v7, v20
	v_cmp_nlt_f32_e32 vcc, v23, v22
	v_cmp_nlt_f32_e64 s[0:1], v8, v24
	v_cmp_neq_f32_e64 s[8:9], v11, v6
	v_cmp_nlt_f32_e64 s[10:11], v10, v21
	v_cmp_neq_f32_e64 s[14:15], v12, v9
	s_or_b64 s[2:3], s[2:3], s[4:5]
	v_cmp_nlt_f32_e64 s[6:7], v11, v6
	v_cmp_nlt_f32_e64 s[12:13], v12, v9
	s_or_b64 s[4:5], s[8:9], s[10:11]
	s_or_b64 s[8:9], s[14:15], vcc
	s_and_b64 vcc, s[0:1], s[2:3]
	v_cndmask_b32_e32 v15, v20, v7, vcc
	s_and_b64 s[0:1], s[6:7], s[4:5]
	s_and_b64 s[2:3], s[12:13], s[8:9]
	v_cndmask_b32_e32 v18, v24, v8, vcc
	v_cndmask_b32_e32 v7, v7, v20, vcc
	;; [unrolled: 1-line block ×3, first 2 shown]
	v_cndmask_b32_e64 v16, v21, v10, s[0:1]
	v_cndmask_b32_e64 v17, v23, v22, s[2:3]
	;; [unrolled: 1-line block ×8, first 2 shown]
	v_cmp_neq_f32_e64 s[0:1], v8, v4
	v_cmp_nlt_f32_e64 s[2:3], v7, v5
	v_cmp_nlt_f32_e32 vcc, v8, v4
	v_cmp_neq_f32_e64 s[6:7], v6, v18
	v_cmp_nlt_f32_e64 s[8:9], v10, v15
	s_or_b64 s[0:1], s[0:1], s[2:3]
	v_cmp_nlt_f32_e64 s[4:5], v6, v18
	s_or_b64 s[2:3], s[6:7], s[8:9]
	s_and_b64 vcc, vcc, s[0:1]
	v_cndmask_b32_e32 v12, v5, v7, vcc
	v_cndmask_b32_e32 v21, v4, v8, vcc
	;; [unrolled: 1-line block ×4, first 2 shown]
	s_and_b64 vcc, s[4:5], s[2:3]
	v_cmp_neq_f32_e64 s[0:1], v11, v19
	v_cmp_nlt_f32_e64 s[2:3], v17, v16
	v_cndmask_b32_e32 v7, v15, v10, vcc
	v_cndmask_b32_e32 v8, v18, v6, vcc
	v_cndmask_b32_e32 v10, v10, v15, vcc
	v_cndmask_b32_e32 v6, v6, v18, vcc
	v_cmp_nlt_f32_e32 vcc, v11, v19
	s_or_b64 s[0:1], s[0:1], s[2:3]
	s_and_b64 vcc, vcc, s[0:1]
	v_cmp_neq_f32_e64 s[0:1], v14, v9
	v_cmp_nlt_f32_e64 s[2:3], v13, v20
	v_cndmask_b32_e32 v15, v17, v16, vcc
	v_cndmask_b32_e32 v18, v11, v19, vcc
	v_cndmask_b32_e32 v16, v16, v17, vcc
	v_cndmask_b32_e32 v11, v19, v11, vcc
	v_cmp_nlt_f32_e32 vcc, v14, v9
	s_or_b64 s[0:1], s[0:1], s[2:3]
	s_and_b64 vcc, vcc, s[0:1]
	;; [unrolled: 9-line block ×19, first 2 shown]
	v_cndmask_b32_e32 v17, v26, v24, vcc
	v_cndmask_b32_e32 v16, v18, v25, vcc
	;; [unrolled: 1-line block ×4, first 2 shown]
	ds_write2_b64 v36, v[4:5], v[8:9] offset1:1
	ds_write2_b64 v36, v[10:11], v[12:13] offset0:2 offset1:3
	ds_write2_b64 v36, v[14:15], v[16:17] offset0:4 offset1:5
	ds_write2_b64 v36, v[18:19], v[6:7] offset0:6 offset1:7
	v_and_b32_e32 v10, 0xf0, v37
	v_or_b32_e32 v38, 8, v10
	v_add_u32_e32 v39, 16, v10
	v_and_b32_e32 v6, 8, v37
	v_sub_u32_e32 v5, v39, v38
	v_sub_u32_e32 v4, v38, v10
	v_sub_u32_e32 v7, v6, v5
	v_cmp_ge_i32_e32 vcc, v6, v5
	v_lshlrev_b32_e32 v3, 3, v10
	v_cndmask_b32_e32 v11, 0, v7, vcc
	v_min_i32_e32 v4, v6, v4
	v_mad_u32_u24 v3, v2, s22, v3
	v_cmp_lt_i32_e32 vcc, v11, v4
	; wave barrier
	s_and_saveexec_b64 s[0:1], vcc
	s_cbranch_execz .LBB24_8
; %bb.1:
	v_lshlrev_b32_e32 v5, 3, v6
	v_add3_u32 v5, v3, v5, 64
	s_mov_b64 s[2:3], 0
                                        ; implicit-def: $sgpr4_sgpr5
	s_branch .LBB24_4
.LBB24_2:                               ;   in Loop: Header=BB24_4 Depth=1
	s_or_b64 exec, exec, s[10:11]
	s_andn2_b64 s[4:5], s[4:5], exec
	s_and_b64 s[8:9], s[8:9], exec
	s_or_b64 s[4:5], s[4:5], s[8:9]
.LBB24_3:                               ;   in Loop: Header=BB24_4 Depth=1
	s_or_b64 exec, exec, s[6:7]
	v_add_u32_e32 v8, 1, v7
	v_cndmask_b32_e64 v4, v4, v7, s[4:5]
	v_cndmask_b32_e64 v11, v8, v11, s[4:5]
	v_cmp_ge_i32_e32 vcc, v11, v4
	s_or_b64 s[2:3], vcc, s[2:3]
	s_andn2_b64 exec, exec, s[2:3]
	s_cbranch_execz .LBB24_7
.LBB24_4:                               ; =>This Inner Loop Header: Depth=1
	v_sub_u32_e32 v7, v4, v11
	v_lshrrev_b32_e32 v8, 31, v7
	v_add_u32_e32 v7, v7, v8
	v_ashrrev_i32_e32 v7, 1, v7
	v_add_u32_e32 v7, v7, v11
	v_lshl_add_u32 v8, v7, 3, v3
	v_not_b32_e32 v9, v7
	v_lshl_add_u32 v9, v9, 3, v5
	ds_read_b32 v12, v8
	ds_read_b32 v13, v9
	s_or_b64 s[4:5], s[4:5], exec
	s_waitcnt lgkmcnt(0)
	v_cmp_nlt_f32_e32 vcc, v13, v12
	s_and_saveexec_b64 s[6:7], vcc
	s_cbranch_execz .LBB24_3
; %bb.5:                                ;   in Loop: Header=BB24_4 Depth=1
	v_cmp_eq_f32_e32 vcc, v13, v12
	s_mov_b64 s[8:9], 0
	s_and_saveexec_b64 s[10:11], vcc
	s_cbranch_execz .LBB24_2
; %bb.6:                                ;   in Loop: Header=BB24_4 Depth=1
	ds_read_b32 v9, v9 offset:4
	ds_read_b32 v8, v8 offset:4
	s_waitcnt lgkmcnt(0)
	v_cmp_lt_f32_e32 vcc, v9, v8
	s_and_b64 s[8:9], vcc, exec
	s_branch .LBB24_2
.LBB24_7:
	s_or_b64 exec, exec, s[2:3]
.LBB24_8:
	s_or_b64 exec, exec, s[0:1]
	v_mul_u32_u24_e32 v34, 0x808, v2
	v_add_u32_e32 v2, v10, v6
	v_lshl_add_u32 v8, v11, 3, v3
	v_sub_u32_e32 v2, v2, v11
	v_lshl_add_u32 v13, v2, 3, v34
	ds_read_b64 v[2:3], v8
	ds_read_b64 v[4:5], v13 offset:64
	v_add_u32_e32 v6, v38, v6
	v_sub_u32_e32 v12, v6, v11
	v_cmp_le_i32_e32 vcc, v39, v12
                                        ; implicit-def: $sgpr2_sgpr3
	s_and_saveexec_b64 s[0:1], vcc
	s_xor_b64 s[0:1], exec, s[0:1]
; %bb.9:
	s_mov_b64 s[2:3], 0
; %bb.10:
	s_andn2_saveexec_b64 s[4:5], s[0:1]
	s_cbranch_execz .LBB24_16
; %bb.11:
	v_cmp_gt_i32_e32 vcc, 8, v11
	s_waitcnt lgkmcnt(0)
	v_cmp_nlt_f32_e64 s[0:1], v4, v2
	s_and_b64 s[8:9], vcc, s[0:1]
	s_mov_b64 s[6:7], -1
	s_and_saveexec_b64 s[0:1], s[8:9]
	s_cbranch_execz .LBB24_15
; %bb.12:
	v_cmp_eq_f32_e32 vcc, v4, v2
	s_mov_b64 s[6:7], 0
	s_and_saveexec_b64 s[8:9], vcc
; %bb.13:
	v_cmp_lt_f32_e32 vcc, v5, v3
	s_and_b64 s[6:7], vcc, exec
; %bb.14:
	s_or_b64 exec, exec, s[8:9]
	s_orn2_b64 s[6:7], s[6:7], exec
.LBB24_15:
	s_or_b64 exec, exec, s[0:1]
	s_andn2_b64 s[0:1], s[2:3], exec
	s_and_b64 s[2:3], s[6:7], exec
	s_or_b64 s[2:3], s[0:1], s[2:3]
.LBB24_16:
	s_or_b64 exec, exec, s[4:5]
	s_xor_b64 s[0:1], s[2:3], -1
                                        ; implicit-def: $vgpr6_vgpr7
	s_and_saveexec_b64 s[4:5], s[0:1]
	s_xor_b64 s[0:1], exec, s[4:5]
	s_cbranch_execz .LBB24_18
; %bb.17:
	ds_read_b64 v[6:7], v8 offset:8
                                        ; implicit-def: $vgpr13
.LBB24_18:
	s_or_saveexec_b64 s[0:1], s[0:1]
	s_waitcnt lgkmcnt(0)
	v_pk_mov_b32 v[8:9], v[4:5], v[4:5] op_sel:[0,1]
	s_xor_b64 exec, exec, s[0:1]
	s_cbranch_execz .LBB24_20
; %bb.19:
	ds_read_b64 v[8:9], v13 offset:72
	v_pk_mov_b32 v[6:7], v[2:3], v[2:3] op_sel:[0,1]
.LBB24_20:
	s_or_b64 exec, exec, s[0:1]
	v_add_u32_e32 v10, v11, v10
	v_add_u32_e32 v11, 1, v12
	;; [unrolled: 1-line block ×3, first 2 shown]
	v_cndmask_b32_e64 v15, v12, v11, s[2:3]
	v_cndmask_b32_e64 v14, v13, v10, s[2:3]
	v_cmp_lt_i32_e32 vcc, v15, v39
	s_mov_b64 s[4:5], 0
	s_and_saveexec_b64 s[6:7], vcc
	s_cbranch_execz .LBB24_26
; %bb.21:
	v_cmp_lt_i32_e32 vcc, v14, v38
	s_waitcnt lgkmcnt(0)
	v_cmp_nlt_f32_e64 s[0:1], v8, v6
	s_and_b64 s[8:9], vcc, s[0:1]
	s_mov_b64 s[4:5], -1
	s_and_saveexec_b64 s[0:1], s[8:9]
	s_cbranch_execz .LBB24_25
; %bb.22:
	v_cmp_eq_f32_e32 vcc, v8, v6
	s_mov_b64 s[4:5], 0
	s_and_saveexec_b64 s[8:9], vcc
; %bb.23:
	v_cmp_lt_f32_e32 vcc, v9, v7
	s_and_b64 s[4:5], vcc, exec
; %bb.24:
	s_or_b64 exec, exec, s[8:9]
	s_orn2_b64 s[4:5], s[4:5], exec
.LBB24_25:
	s_or_b64 exec, exec, s[0:1]
	s_and_b64 s[4:5], s[4:5], exec
.LBB24_26:
	s_or_b64 exec, exec, s[6:7]
	s_xor_b64 s[0:1], s[4:5], -1
                                        ; implicit-def: $vgpr10_vgpr11
	s_and_saveexec_b64 s[6:7], s[0:1]
	s_xor_b64 s[0:1], exec, s[6:7]
	s_cbranch_execz .LBB24_28
; %bb.27:
	v_lshl_add_u32 v10, v14, 3, v34
	ds_read_b64 v[10:11], v10 offset:8
.LBB24_28:
	s_or_saveexec_b64 s[0:1], s[0:1]
	s_waitcnt lgkmcnt(0)
	v_pk_mov_b32 v[12:13], v[8:9], v[8:9] op_sel:[0,1]
	s_xor_b64 exec, exec, s[0:1]
	s_cbranch_execz .LBB24_30
; %bb.29:
	v_lshl_add_u32 v10, v15, 3, v34
	ds_read_b64 v[12:13], v10 offset:8
	v_pk_mov_b32 v[10:11], v[6:7], v[6:7] op_sel:[0,1]
.LBB24_30:
	s_or_b64 exec, exec, s[0:1]
	v_add_u32_e32 v17, 1, v15
	v_cndmask_b32_e64 v18, v15, v17, s[4:5]
	v_add_u32_e32 v16, 1, v14
	v_cmp_ge_i32_e32 vcc, v18, v39
                                        ; implicit-def: $sgpr6_sgpr7
	s_and_saveexec_b64 s[0:1], vcc
	s_xor_b64 s[0:1], exec, s[0:1]
; %bb.31:
	s_mov_b64 s[6:7], 0
; %bb.32:
	s_or_saveexec_b64 s[8:9], s[0:1]
	v_cndmask_b32_e64 v19, v16, v14, s[4:5]
	s_xor_b64 exec, exec, s[8:9]
	s_cbranch_execz .LBB24_38
; %bb.33:
	v_cmp_lt_i32_e32 vcc, v19, v38
	s_waitcnt lgkmcnt(0)
	v_cmp_nlt_f32_e64 s[0:1], v12, v10
	s_and_b64 s[12:13], vcc, s[0:1]
	s_mov_b64 s[10:11], -1
	s_and_saveexec_b64 s[0:1], s[12:13]
	s_cbranch_execz .LBB24_37
; %bb.34:
	v_cmp_eq_f32_e32 vcc, v12, v10
	s_mov_b64 s[10:11], 0
	s_and_saveexec_b64 s[12:13], vcc
; %bb.35:
	v_cmp_lt_f32_e32 vcc, v13, v11
	s_and_b64 s[10:11], vcc, exec
; %bb.36:
	s_or_b64 exec, exec, s[12:13]
	s_orn2_b64 s[10:11], s[10:11], exec
.LBB24_37:
	s_or_b64 exec, exec, s[0:1]
	s_andn2_b64 s[0:1], s[6:7], exec
	s_and_b64 s[6:7], s[10:11], exec
	s_or_b64 s[6:7], s[0:1], s[6:7]
.LBB24_38:
	s_or_b64 exec, exec, s[8:9]
	s_xor_b64 s[0:1], s[6:7], -1
                                        ; implicit-def: $vgpr14_vgpr15
	s_and_saveexec_b64 s[8:9], s[0:1]
	s_xor_b64 s[0:1], exec, s[8:9]
	s_cbranch_execz .LBB24_40
; %bb.39:
	v_lshl_add_u32 v14, v19, 3, v34
	ds_read_b64 v[14:15], v14 offset:8
.LBB24_40:
	s_or_saveexec_b64 s[0:1], s[0:1]
	s_waitcnt lgkmcnt(0)
	v_pk_mov_b32 v[16:17], v[12:13], v[12:13] op_sel:[0,1]
	s_xor_b64 exec, exec, s[0:1]
	s_cbranch_execz .LBB24_42
; %bb.41:
	v_lshl_add_u32 v14, v18, 3, v34
	ds_read_b64 v[16:17], v14 offset:8
	v_pk_mov_b32 v[14:15], v[10:11], v[10:11] op_sel:[0,1]
.LBB24_42:
	s_or_b64 exec, exec, s[0:1]
	v_add_u32_e32 v20, 1, v18
	v_add_u32_e32 v21, 1, v19
	v_cndmask_b32_e64 v23, v18, v20, s[6:7]
	v_cndmask_b32_e64 v22, v21, v19, s[6:7]
	v_cmp_lt_i32_e32 vcc, v23, v39
	s_mov_b64 s[8:9], 0
	s_and_saveexec_b64 s[10:11], vcc
	s_cbranch_execz .LBB24_48
; %bb.43:
	v_cmp_lt_i32_e32 vcc, v22, v38
	s_waitcnt lgkmcnt(0)
	v_cmp_nlt_f32_e64 s[0:1], v16, v14
	s_and_b64 s[12:13], vcc, s[0:1]
	s_mov_b64 s[8:9], -1
	s_and_saveexec_b64 s[0:1], s[12:13]
	s_cbranch_execz .LBB24_47
; %bb.44:
	v_cmp_eq_f32_e32 vcc, v16, v14
	s_mov_b64 s[8:9], 0
	s_and_saveexec_b64 s[12:13], vcc
; %bb.45:
	v_cmp_lt_f32_e32 vcc, v17, v15
	s_and_b64 s[8:9], vcc, exec
; %bb.46:
	s_or_b64 exec, exec, s[12:13]
	s_orn2_b64 s[8:9], s[8:9], exec
.LBB24_47:
	s_or_b64 exec, exec, s[0:1]
	s_and_b64 s[8:9], s[8:9], exec
.LBB24_48:
	s_or_b64 exec, exec, s[10:11]
	s_xor_b64 s[0:1], s[8:9], -1
                                        ; implicit-def: $vgpr18_vgpr19
	s_and_saveexec_b64 s[10:11], s[0:1]
	s_xor_b64 s[0:1], exec, s[10:11]
	s_cbranch_execz .LBB24_50
; %bb.49:
	v_lshl_add_u32 v18, v22, 3, v34
	ds_read_b64 v[18:19], v18 offset:8
.LBB24_50:
	s_or_saveexec_b64 s[0:1], s[0:1]
	s_waitcnt lgkmcnt(0)
	v_pk_mov_b32 v[20:21], v[16:17], v[16:17] op_sel:[0,1]
	s_xor_b64 exec, exec, s[0:1]
	s_cbranch_execz .LBB24_52
; %bb.51:
	v_lshl_add_u32 v18, v23, 3, v34
	ds_read_b64 v[20:21], v18 offset:8
	v_pk_mov_b32 v[18:19], v[14:15], v[14:15] op_sel:[0,1]
.LBB24_52:
	s_or_b64 exec, exec, s[0:1]
	v_add_u32_e32 v25, 1, v23
	v_cndmask_b32_e64 v26, v23, v25, s[8:9]
	v_add_u32_e32 v24, 1, v22
	v_cmp_ge_i32_e32 vcc, v26, v39
                                        ; implicit-def: $sgpr10_sgpr11
	s_and_saveexec_b64 s[0:1], vcc
	s_xor_b64 s[0:1], exec, s[0:1]
; %bb.53:
	s_mov_b64 s[10:11], 0
; %bb.54:
	s_or_saveexec_b64 s[12:13], s[0:1]
	v_cndmask_b32_e64 v27, v24, v22, s[8:9]
	s_xor_b64 exec, exec, s[12:13]
	s_cbranch_execz .LBB24_60
; %bb.55:
	v_cmp_lt_i32_e32 vcc, v27, v38
	s_waitcnt lgkmcnt(0)
	v_cmp_nlt_f32_e64 s[0:1], v20, v18
	s_and_b64 s[16:17], vcc, s[0:1]
	s_mov_b64 s[14:15], -1
	s_and_saveexec_b64 s[0:1], s[16:17]
	s_cbranch_execz .LBB24_59
; %bb.56:
	v_cmp_eq_f32_e32 vcc, v20, v18
	s_mov_b64 s[14:15], 0
	s_and_saveexec_b64 s[16:17], vcc
; %bb.57:
	v_cmp_lt_f32_e32 vcc, v21, v19
	s_and_b64 s[14:15], vcc, exec
; %bb.58:
	s_or_b64 exec, exec, s[16:17]
	s_orn2_b64 s[14:15], s[14:15], exec
.LBB24_59:
	s_or_b64 exec, exec, s[0:1]
	s_andn2_b64 s[0:1], s[10:11], exec
	s_and_b64 s[10:11], s[14:15], exec
	s_or_b64 s[10:11], s[0:1], s[10:11]
.LBB24_60:
	s_or_b64 exec, exec, s[12:13]
	s_xor_b64 s[0:1], s[10:11], -1
                                        ; implicit-def: $vgpr22_vgpr23
	s_and_saveexec_b64 s[12:13], s[0:1]
	s_xor_b64 s[0:1], exec, s[12:13]
	s_cbranch_execz .LBB24_62
; %bb.61:
	v_lshl_add_u32 v22, v27, 3, v34
	ds_read_b64 v[22:23], v22 offset:8
.LBB24_62:
	s_or_saveexec_b64 s[0:1], s[0:1]
	s_waitcnt lgkmcnt(0)
	v_pk_mov_b32 v[24:25], v[20:21], v[20:21] op_sel:[0,1]
	s_xor_b64 exec, exec, s[0:1]
	s_cbranch_execz .LBB24_64
; %bb.63:
	v_lshl_add_u32 v22, v26, 3, v34
	ds_read_b64 v[24:25], v22 offset:8
	v_pk_mov_b32 v[22:23], v[18:19], v[18:19] op_sel:[0,1]
.LBB24_64:
	s_or_b64 exec, exec, s[0:1]
	v_add_u32_e32 v28, 1, v26
	v_add_u32_e32 v29, 1, v27
	v_cndmask_b32_e64 v31, v26, v28, s[10:11]
	v_cndmask_b32_e64 v30, v29, v27, s[10:11]
	v_cmp_lt_i32_e32 vcc, v31, v39
	s_mov_b64 s[12:13], 0
	s_and_saveexec_b64 s[14:15], vcc
	s_cbranch_execz .LBB24_70
; %bb.65:
	v_cmp_lt_i32_e32 vcc, v30, v38
	s_waitcnt lgkmcnt(0)
	v_cmp_nlt_f32_e64 s[0:1], v24, v22
	s_and_b64 s[16:17], vcc, s[0:1]
	s_mov_b64 s[12:13], -1
	s_and_saveexec_b64 s[0:1], s[16:17]
	s_cbranch_execz .LBB24_69
; %bb.66:
	v_cmp_eq_f32_e32 vcc, v24, v22
	s_mov_b64 s[12:13], 0
	s_and_saveexec_b64 s[16:17], vcc
; %bb.67:
	v_cmp_lt_f32_e32 vcc, v25, v23
	s_and_b64 s[12:13], vcc, exec
; %bb.68:
	s_or_b64 exec, exec, s[16:17]
	s_orn2_b64 s[12:13], s[12:13], exec
.LBB24_69:
	s_or_b64 exec, exec, s[0:1]
	s_and_b64 s[12:13], s[12:13], exec
.LBB24_70:
	s_or_b64 exec, exec, s[14:15]
	s_xor_b64 s[0:1], s[12:13], -1
                                        ; implicit-def: $vgpr26_vgpr27
	s_and_saveexec_b64 s[14:15], s[0:1]
	s_xor_b64 s[0:1], exec, s[14:15]
	s_cbranch_execz .LBB24_72
; %bb.71:
	v_lshl_add_u32 v26, v30, 3, v34
	ds_read_b64 v[26:27], v26 offset:8
.LBB24_72:
	s_or_saveexec_b64 s[0:1], s[0:1]
	s_waitcnt lgkmcnt(0)
	v_pk_mov_b32 v[28:29], v[24:25], v[24:25] op_sel:[0,1]
	s_xor_b64 exec, exec, s[0:1]
	s_cbranch_execz .LBB24_74
; %bb.73:
	v_lshl_add_u32 v26, v31, 3, v34
	ds_read_b64 v[28:29], v26 offset:8
	v_pk_mov_b32 v[26:27], v[22:23], v[22:23] op_sel:[0,1]
.LBB24_74:
	s_or_b64 exec, exec, s[0:1]
	v_add_u32_e32 v33, 1, v31
	v_cndmask_b32_e64 v40, v31, v33, s[12:13]
	v_add_u32_e32 v32, 1, v30
	v_cmp_ge_i32_e32 vcc, v40, v39
                                        ; implicit-def: $sgpr14_sgpr15
	s_and_saveexec_b64 s[0:1], vcc
	s_xor_b64 s[0:1], exec, s[0:1]
; %bb.75:
	s_mov_b64 s[14:15], 0
; %bb.76:
	s_or_saveexec_b64 s[16:17], s[0:1]
	v_cndmask_b32_e64 v41, v32, v30, s[12:13]
	s_xor_b64 exec, exec, s[16:17]
	s_cbranch_execz .LBB24_82
; %bb.77:
	v_cmp_lt_i32_e32 vcc, v41, v38
	s_waitcnt lgkmcnt(0)
	v_cmp_nlt_f32_e64 s[0:1], v28, v26
	s_and_b64 s[20:21], vcc, s[0:1]
	s_mov_b64 s[18:19], -1
	s_and_saveexec_b64 s[0:1], s[20:21]
	s_cbranch_execz .LBB24_81
; %bb.78:
	v_cmp_eq_f32_e32 vcc, v28, v26
	s_mov_b64 s[18:19], 0
	s_and_saveexec_b64 s[20:21], vcc
; %bb.79:
	v_cmp_lt_f32_e32 vcc, v29, v27
	s_and_b64 s[18:19], vcc, exec
; %bb.80:
	s_or_b64 exec, exec, s[20:21]
	s_orn2_b64 s[18:19], s[18:19], exec
.LBB24_81:
	s_or_b64 exec, exec, s[0:1]
	s_andn2_b64 s[0:1], s[14:15], exec
	s_and_b64 s[14:15], s[18:19], exec
	s_or_b64 s[14:15], s[0:1], s[14:15]
.LBB24_82:
	s_or_b64 exec, exec, s[16:17]
	s_xor_b64 s[0:1], s[14:15], -1
                                        ; implicit-def: $vgpr30_vgpr31
	s_and_saveexec_b64 s[16:17], s[0:1]
	s_xor_b64 s[0:1], exec, s[16:17]
	s_cbranch_execz .LBB24_84
; %bb.83:
	v_lshl_add_u32 v30, v41, 3, v34
	ds_read_b64 v[30:31], v30 offset:8
.LBB24_84:
	s_or_saveexec_b64 s[0:1], s[0:1]
	s_waitcnt lgkmcnt(0)
	v_pk_mov_b32 v[32:33], v[28:29], v[28:29] op_sel:[0,1]
	s_xor_b64 exec, exec, s[0:1]
	s_cbranch_execz .LBB24_86
; %bb.85:
	v_lshl_add_u32 v30, v40, 3, v34
	ds_read_b64 v[32:33], v30 offset:8
	v_pk_mov_b32 v[30:31], v[26:27], v[26:27] op_sel:[0,1]
.LBB24_86:
	s_or_b64 exec, exec, s[0:1]
	v_add_u32_e32 v42, 1, v40
	v_cndmask_b32_e64 v40, v40, v42, s[14:15]
	v_cmp_lt_i32_e32 vcc, v40, v39
	s_mov_b64 s[0:1], 0
	s_and_saveexec_b64 s[16:17], vcc
	s_cbranch_execz .LBB24_92
; %bb.87:
	v_add_u32_e32 v39, 1, v41
	v_cndmask_b32_e64 v39, v39, v41, s[14:15]
	v_cmp_lt_i32_e32 vcc, v39, v38
	s_waitcnt lgkmcnt(0)
	v_cmp_nlt_f32_e64 s[0:1], v32, v30
	s_and_b64 s[20:21], vcc, s[0:1]
	s_mov_b64 s[18:19], -1
	s_and_saveexec_b64 s[0:1], s[20:21]
	s_cbranch_execz .LBB24_91
; %bb.88:
	v_cmp_eq_f32_e32 vcc, v32, v30
	s_mov_b64 s[18:19], 0
	s_and_saveexec_b64 s[20:21], vcc
; %bb.89:
	v_cmp_lt_f32_e32 vcc, v33, v31
	s_and_b64 s[18:19], vcc, exec
; %bb.90:
	s_or_b64 exec, exec, s[20:21]
	s_orn2_b64 s[18:19], s[18:19], exec
.LBB24_91:
	s_or_b64 exec, exec, s[0:1]
	s_and_b64 s[0:1], s[18:19], exec
.LBB24_92:
	s_or_b64 exec, exec, s[16:17]
	v_cndmask_b32_e64 v10, v10, v12, s[6:7]
	v_cndmask_b32_e64 v7, v7, v9, s[4:5]
	;; [unrolled: 1-line block ×14, first 2 shown]
	s_waitcnt lgkmcnt(0)
	v_cndmask_b32_e64 v5, v31, v33, s[0:1]
	v_cndmask_b32_e64 v4, v30, v32, s[0:1]
	; wave barrier
	ds_write2_b64 v36, v[2:3], v[6:7] offset1:1
	ds_write2_b64 v36, v[10:11], v[14:15] offset0:2 offset1:3
	ds_write2_b64 v36, v[18:19], v[22:23] offset0:4 offset1:5
	;; [unrolled: 1-line block ×3, first 2 shown]
	v_and_b32_e32 v10, 0xe0, v37
	v_or_b32_e32 v38, 16, v10
	v_add_u32_e32 v39, 32, v10
	v_and_b32_e32 v6, 24, v37
	v_sub_u32_e32 v4, v39, v38
	v_sub_u32_e32 v3, v38, v10
	;; [unrolled: 1-line block ×3, first 2 shown]
	v_cmp_ge_i32_e32 vcc, v6, v4
	v_cndmask_b32_e32 v11, 0, v5, vcc
	v_min_i32_e32 v3, v6, v3
	v_lshl_add_u32 v2, v10, 3, v34
	v_cmp_lt_i32_e32 vcc, v11, v3
	; wave barrier
	s_and_saveexec_b64 s[0:1], vcc
	s_cbranch_execz .LBB24_100
; %bb.93:
	v_lshlrev_b32_e32 v4, 3, v6
	s_movk_i32 s2, 0x80
	v_add3_u32 v4, v2, v4, s2
	s_mov_b64 s[2:3], 0
                                        ; implicit-def: $sgpr4_sgpr5
	s_branch .LBB24_96
.LBB24_94:                              ;   in Loop: Header=BB24_96 Depth=1
	s_or_b64 exec, exec, s[10:11]
	s_andn2_b64 s[4:5], s[4:5], exec
	s_and_b64 s[8:9], s[8:9], exec
	s_or_b64 s[4:5], s[4:5], s[8:9]
.LBB24_95:                              ;   in Loop: Header=BB24_96 Depth=1
	s_or_b64 exec, exec, s[6:7]
	v_add_u32_e32 v7, 1, v5
	v_cndmask_b32_e64 v3, v3, v5, s[4:5]
	v_cndmask_b32_e64 v11, v7, v11, s[4:5]
	v_cmp_ge_i32_e32 vcc, v11, v3
	s_or_b64 s[2:3], vcc, s[2:3]
	s_andn2_b64 exec, exec, s[2:3]
	s_cbranch_execz .LBB24_99
.LBB24_96:                              ; =>This Inner Loop Header: Depth=1
	v_sub_u32_e32 v5, v3, v11
	v_lshrrev_b32_e32 v7, 31, v5
	v_add_u32_e32 v5, v5, v7
	v_ashrrev_i32_e32 v5, 1, v5
	v_add_u32_e32 v5, v5, v11
	v_lshl_add_u32 v7, v5, 3, v2
	v_not_b32_e32 v8, v5
	v_lshl_add_u32 v8, v8, 3, v4
	ds_read_b32 v9, v7
	ds_read_b32 v12, v8
	s_or_b64 s[4:5], s[4:5], exec
	s_waitcnt lgkmcnt(0)
	v_cmp_nlt_f32_e32 vcc, v12, v9
	s_and_saveexec_b64 s[6:7], vcc
	s_cbranch_execz .LBB24_95
; %bb.97:                               ;   in Loop: Header=BB24_96 Depth=1
	v_cmp_eq_f32_e32 vcc, v12, v9
	s_mov_b64 s[8:9], 0
	s_and_saveexec_b64 s[10:11], vcc
	s_cbranch_execz .LBB24_94
; %bb.98:                               ;   in Loop: Header=BB24_96 Depth=1
	ds_read_b32 v8, v8 offset:4
	ds_read_b32 v7, v7 offset:4
	s_waitcnt lgkmcnt(0)
	v_cmp_lt_f32_e32 vcc, v8, v7
	s_and_b64 s[8:9], vcc, exec
	s_branch .LBB24_94
.LBB24_99:
	s_or_b64 exec, exec, s[2:3]
.LBB24_100:
	s_or_b64 exec, exec, s[0:1]
	v_lshl_add_u32 v8, v11, 3, v2
	v_add_u32_e32 v2, v10, v6
	v_sub_u32_e32 v2, v2, v11
	v_lshl_add_u32 v13, v2, 3, v34
	ds_read_b64 v[2:3], v8
	ds_read_b64 v[4:5], v13 offset:128
	v_add_u32_e32 v6, v38, v6
	v_sub_u32_e32 v12, v6, v11
	v_cmp_le_i32_e32 vcc, v39, v12
                                        ; implicit-def: $sgpr2_sgpr3
	s_and_saveexec_b64 s[0:1], vcc
	s_xor_b64 s[0:1], exec, s[0:1]
; %bb.101:
	s_mov_b64 s[2:3], 0
; %bb.102:
	s_andn2_saveexec_b64 s[4:5], s[0:1]
	s_cbranch_execz .LBB24_108
; %bb.103:
	v_cmp_gt_i32_e32 vcc, 16, v11
	s_waitcnt lgkmcnt(0)
	v_cmp_nlt_f32_e64 s[0:1], v4, v2
	s_and_b64 s[8:9], vcc, s[0:1]
	s_mov_b64 s[6:7], -1
	s_and_saveexec_b64 s[0:1], s[8:9]
	s_cbranch_execz .LBB24_107
; %bb.104:
	v_cmp_eq_f32_e32 vcc, v4, v2
	s_mov_b64 s[6:7], 0
	s_and_saveexec_b64 s[8:9], vcc
; %bb.105:
	v_cmp_lt_f32_e32 vcc, v5, v3
	s_and_b64 s[6:7], vcc, exec
; %bb.106:
	s_or_b64 exec, exec, s[8:9]
	s_orn2_b64 s[6:7], s[6:7], exec
.LBB24_107:
	s_or_b64 exec, exec, s[0:1]
	s_andn2_b64 s[0:1], s[2:3], exec
	s_and_b64 s[2:3], s[6:7], exec
	s_or_b64 s[2:3], s[0:1], s[2:3]
.LBB24_108:
	s_or_b64 exec, exec, s[4:5]
	s_xor_b64 s[0:1], s[2:3], -1
                                        ; implicit-def: $vgpr6_vgpr7
	s_and_saveexec_b64 s[4:5], s[0:1]
	s_xor_b64 s[0:1], exec, s[4:5]
	s_cbranch_execz .LBB24_110
; %bb.109:
	ds_read_b64 v[6:7], v8 offset:8
                                        ; implicit-def: $vgpr13
.LBB24_110:
	s_or_saveexec_b64 s[0:1], s[0:1]
	s_waitcnt lgkmcnt(0)
	v_pk_mov_b32 v[8:9], v[4:5], v[4:5] op_sel:[0,1]
	s_xor_b64 exec, exec, s[0:1]
	s_cbranch_execz .LBB24_112
; %bb.111:
	ds_read_b64 v[8:9], v13 offset:136
	v_pk_mov_b32 v[6:7], v[2:3], v[2:3] op_sel:[0,1]
.LBB24_112:
	s_or_b64 exec, exec, s[0:1]
	v_add_u32_e32 v10, v11, v10
	v_add_u32_e32 v11, 1, v12
	;; [unrolled: 1-line block ×3, first 2 shown]
	v_cndmask_b32_e64 v15, v12, v11, s[2:3]
	v_cndmask_b32_e64 v14, v13, v10, s[2:3]
	v_cmp_lt_i32_e32 vcc, v15, v39
	s_mov_b64 s[4:5], 0
	s_and_saveexec_b64 s[6:7], vcc
	s_cbranch_execz .LBB24_118
; %bb.113:
	v_cmp_lt_i32_e32 vcc, v14, v38
	s_waitcnt lgkmcnt(0)
	v_cmp_nlt_f32_e64 s[0:1], v8, v6
	s_and_b64 s[8:9], vcc, s[0:1]
	s_mov_b64 s[4:5], -1
	s_and_saveexec_b64 s[0:1], s[8:9]
	s_cbranch_execz .LBB24_117
; %bb.114:
	v_cmp_eq_f32_e32 vcc, v8, v6
	s_mov_b64 s[4:5], 0
	s_and_saveexec_b64 s[8:9], vcc
; %bb.115:
	v_cmp_lt_f32_e32 vcc, v9, v7
	s_and_b64 s[4:5], vcc, exec
; %bb.116:
	s_or_b64 exec, exec, s[8:9]
	s_orn2_b64 s[4:5], s[4:5], exec
.LBB24_117:
	s_or_b64 exec, exec, s[0:1]
	s_and_b64 s[4:5], s[4:5], exec
.LBB24_118:
	s_or_b64 exec, exec, s[6:7]
	s_xor_b64 s[0:1], s[4:5], -1
                                        ; implicit-def: $vgpr10_vgpr11
	s_and_saveexec_b64 s[6:7], s[0:1]
	s_xor_b64 s[0:1], exec, s[6:7]
	s_cbranch_execz .LBB24_120
; %bb.119:
	v_lshl_add_u32 v10, v14, 3, v34
	ds_read_b64 v[10:11], v10 offset:8
.LBB24_120:
	s_or_saveexec_b64 s[0:1], s[0:1]
	s_waitcnt lgkmcnt(0)
	v_pk_mov_b32 v[12:13], v[8:9], v[8:9] op_sel:[0,1]
	s_xor_b64 exec, exec, s[0:1]
	s_cbranch_execz .LBB24_122
; %bb.121:
	v_lshl_add_u32 v10, v15, 3, v34
	ds_read_b64 v[12:13], v10 offset:8
	v_pk_mov_b32 v[10:11], v[6:7], v[6:7] op_sel:[0,1]
.LBB24_122:
	s_or_b64 exec, exec, s[0:1]
	v_add_u32_e32 v17, 1, v15
	v_cndmask_b32_e64 v18, v15, v17, s[4:5]
	v_add_u32_e32 v16, 1, v14
	v_cmp_ge_i32_e32 vcc, v18, v39
                                        ; implicit-def: $sgpr6_sgpr7
	s_and_saveexec_b64 s[0:1], vcc
	s_xor_b64 s[0:1], exec, s[0:1]
; %bb.123:
	s_mov_b64 s[6:7], 0
; %bb.124:
	s_or_saveexec_b64 s[8:9], s[0:1]
	v_cndmask_b32_e64 v19, v16, v14, s[4:5]
	s_xor_b64 exec, exec, s[8:9]
	s_cbranch_execz .LBB24_130
; %bb.125:
	v_cmp_lt_i32_e32 vcc, v19, v38
	s_waitcnt lgkmcnt(0)
	v_cmp_nlt_f32_e64 s[0:1], v12, v10
	s_and_b64 s[12:13], vcc, s[0:1]
	s_mov_b64 s[10:11], -1
	s_and_saveexec_b64 s[0:1], s[12:13]
	s_cbranch_execz .LBB24_129
; %bb.126:
	v_cmp_eq_f32_e32 vcc, v12, v10
	s_mov_b64 s[10:11], 0
	s_and_saveexec_b64 s[12:13], vcc
; %bb.127:
	v_cmp_lt_f32_e32 vcc, v13, v11
	s_and_b64 s[10:11], vcc, exec
; %bb.128:
	s_or_b64 exec, exec, s[12:13]
	s_orn2_b64 s[10:11], s[10:11], exec
.LBB24_129:
	s_or_b64 exec, exec, s[0:1]
	s_andn2_b64 s[0:1], s[6:7], exec
	s_and_b64 s[6:7], s[10:11], exec
	s_or_b64 s[6:7], s[0:1], s[6:7]
.LBB24_130:
	s_or_b64 exec, exec, s[8:9]
	s_xor_b64 s[0:1], s[6:7], -1
                                        ; implicit-def: $vgpr14_vgpr15
	s_and_saveexec_b64 s[8:9], s[0:1]
	s_xor_b64 s[0:1], exec, s[8:9]
	s_cbranch_execz .LBB24_132
; %bb.131:
	v_lshl_add_u32 v14, v19, 3, v34
	ds_read_b64 v[14:15], v14 offset:8
.LBB24_132:
	s_or_saveexec_b64 s[0:1], s[0:1]
	s_waitcnt lgkmcnt(0)
	v_pk_mov_b32 v[16:17], v[12:13], v[12:13] op_sel:[0,1]
	s_xor_b64 exec, exec, s[0:1]
	s_cbranch_execz .LBB24_134
; %bb.133:
	v_lshl_add_u32 v14, v18, 3, v34
	ds_read_b64 v[16:17], v14 offset:8
	v_pk_mov_b32 v[14:15], v[10:11], v[10:11] op_sel:[0,1]
.LBB24_134:
	s_or_b64 exec, exec, s[0:1]
	v_add_u32_e32 v20, 1, v18
	v_add_u32_e32 v21, 1, v19
	v_cndmask_b32_e64 v23, v18, v20, s[6:7]
	v_cndmask_b32_e64 v22, v21, v19, s[6:7]
	v_cmp_lt_i32_e32 vcc, v23, v39
	s_mov_b64 s[8:9], 0
	s_and_saveexec_b64 s[10:11], vcc
	s_cbranch_execz .LBB24_140
; %bb.135:
	v_cmp_lt_i32_e32 vcc, v22, v38
	s_waitcnt lgkmcnt(0)
	v_cmp_nlt_f32_e64 s[0:1], v16, v14
	s_and_b64 s[12:13], vcc, s[0:1]
	s_mov_b64 s[8:9], -1
	s_and_saveexec_b64 s[0:1], s[12:13]
	s_cbranch_execz .LBB24_139
; %bb.136:
	v_cmp_eq_f32_e32 vcc, v16, v14
	s_mov_b64 s[8:9], 0
	s_and_saveexec_b64 s[12:13], vcc
; %bb.137:
	v_cmp_lt_f32_e32 vcc, v17, v15
	s_and_b64 s[8:9], vcc, exec
; %bb.138:
	s_or_b64 exec, exec, s[12:13]
	s_orn2_b64 s[8:9], s[8:9], exec
.LBB24_139:
	s_or_b64 exec, exec, s[0:1]
	s_and_b64 s[8:9], s[8:9], exec
.LBB24_140:
	s_or_b64 exec, exec, s[10:11]
	s_xor_b64 s[0:1], s[8:9], -1
                                        ; implicit-def: $vgpr18_vgpr19
	s_and_saveexec_b64 s[10:11], s[0:1]
	s_xor_b64 s[0:1], exec, s[10:11]
	s_cbranch_execz .LBB24_142
; %bb.141:
	v_lshl_add_u32 v18, v22, 3, v34
	ds_read_b64 v[18:19], v18 offset:8
.LBB24_142:
	s_or_saveexec_b64 s[0:1], s[0:1]
	s_waitcnt lgkmcnt(0)
	v_pk_mov_b32 v[20:21], v[16:17], v[16:17] op_sel:[0,1]
	s_xor_b64 exec, exec, s[0:1]
	s_cbranch_execz .LBB24_144
; %bb.143:
	v_lshl_add_u32 v18, v23, 3, v34
	ds_read_b64 v[20:21], v18 offset:8
	v_pk_mov_b32 v[18:19], v[14:15], v[14:15] op_sel:[0,1]
.LBB24_144:
	s_or_b64 exec, exec, s[0:1]
	v_add_u32_e32 v25, 1, v23
	v_cndmask_b32_e64 v26, v23, v25, s[8:9]
	v_add_u32_e32 v24, 1, v22
	v_cmp_ge_i32_e32 vcc, v26, v39
                                        ; implicit-def: $sgpr10_sgpr11
	s_and_saveexec_b64 s[0:1], vcc
	s_xor_b64 s[0:1], exec, s[0:1]
; %bb.145:
	s_mov_b64 s[10:11], 0
; %bb.146:
	s_or_saveexec_b64 s[12:13], s[0:1]
	v_cndmask_b32_e64 v27, v24, v22, s[8:9]
	s_xor_b64 exec, exec, s[12:13]
	s_cbranch_execz .LBB24_152
; %bb.147:
	v_cmp_lt_i32_e32 vcc, v27, v38
	s_waitcnt lgkmcnt(0)
	v_cmp_nlt_f32_e64 s[0:1], v20, v18
	s_and_b64 s[16:17], vcc, s[0:1]
	s_mov_b64 s[14:15], -1
	s_and_saveexec_b64 s[0:1], s[16:17]
	s_cbranch_execz .LBB24_151
; %bb.148:
	v_cmp_eq_f32_e32 vcc, v20, v18
	s_mov_b64 s[14:15], 0
	s_and_saveexec_b64 s[16:17], vcc
; %bb.149:
	v_cmp_lt_f32_e32 vcc, v21, v19
	s_and_b64 s[14:15], vcc, exec
; %bb.150:
	s_or_b64 exec, exec, s[16:17]
	s_orn2_b64 s[14:15], s[14:15], exec
.LBB24_151:
	s_or_b64 exec, exec, s[0:1]
	s_andn2_b64 s[0:1], s[10:11], exec
	s_and_b64 s[10:11], s[14:15], exec
	s_or_b64 s[10:11], s[0:1], s[10:11]
.LBB24_152:
	s_or_b64 exec, exec, s[12:13]
	s_xor_b64 s[0:1], s[10:11], -1
                                        ; implicit-def: $vgpr22_vgpr23
	s_and_saveexec_b64 s[12:13], s[0:1]
	s_xor_b64 s[0:1], exec, s[12:13]
	s_cbranch_execz .LBB24_154
; %bb.153:
	v_lshl_add_u32 v22, v27, 3, v34
	ds_read_b64 v[22:23], v22 offset:8
.LBB24_154:
	s_or_saveexec_b64 s[0:1], s[0:1]
	s_waitcnt lgkmcnt(0)
	v_pk_mov_b32 v[24:25], v[20:21], v[20:21] op_sel:[0,1]
	s_xor_b64 exec, exec, s[0:1]
	s_cbranch_execz .LBB24_156
; %bb.155:
	v_lshl_add_u32 v22, v26, 3, v34
	ds_read_b64 v[24:25], v22 offset:8
	v_pk_mov_b32 v[22:23], v[18:19], v[18:19] op_sel:[0,1]
.LBB24_156:
	s_or_b64 exec, exec, s[0:1]
	v_add_u32_e32 v28, 1, v26
	v_add_u32_e32 v29, 1, v27
	v_cndmask_b32_e64 v31, v26, v28, s[10:11]
	v_cndmask_b32_e64 v30, v29, v27, s[10:11]
	v_cmp_lt_i32_e32 vcc, v31, v39
	s_mov_b64 s[12:13], 0
	s_and_saveexec_b64 s[14:15], vcc
	s_cbranch_execz .LBB24_162
; %bb.157:
	v_cmp_lt_i32_e32 vcc, v30, v38
	s_waitcnt lgkmcnt(0)
	v_cmp_nlt_f32_e64 s[0:1], v24, v22
	s_and_b64 s[16:17], vcc, s[0:1]
	s_mov_b64 s[12:13], -1
	s_and_saveexec_b64 s[0:1], s[16:17]
	s_cbranch_execz .LBB24_161
; %bb.158:
	v_cmp_eq_f32_e32 vcc, v24, v22
	s_mov_b64 s[12:13], 0
	s_and_saveexec_b64 s[16:17], vcc
; %bb.159:
	v_cmp_lt_f32_e32 vcc, v25, v23
	s_and_b64 s[12:13], vcc, exec
; %bb.160:
	s_or_b64 exec, exec, s[16:17]
	s_orn2_b64 s[12:13], s[12:13], exec
.LBB24_161:
	s_or_b64 exec, exec, s[0:1]
	s_and_b64 s[12:13], s[12:13], exec
.LBB24_162:
	s_or_b64 exec, exec, s[14:15]
	s_xor_b64 s[0:1], s[12:13], -1
                                        ; implicit-def: $vgpr26_vgpr27
	s_and_saveexec_b64 s[14:15], s[0:1]
	s_xor_b64 s[0:1], exec, s[14:15]
	s_cbranch_execz .LBB24_164
; %bb.163:
	v_lshl_add_u32 v26, v30, 3, v34
	ds_read_b64 v[26:27], v26 offset:8
.LBB24_164:
	s_or_saveexec_b64 s[0:1], s[0:1]
	s_waitcnt lgkmcnt(0)
	v_pk_mov_b32 v[28:29], v[24:25], v[24:25] op_sel:[0,1]
	s_xor_b64 exec, exec, s[0:1]
	s_cbranch_execz .LBB24_166
; %bb.165:
	v_lshl_add_u32 v26, v31, 3, v34
	ds_read_b64 v[28:29], v26 offset:8
	v_pk_mov_b32 v[26:27], v[22:23], v[22:23] op_sel:[0,1]
.LBB24_166:
	s_or_b64 exec, exec, s[0:1]
	v_add_u32_e32 v33, 1, v31
	v_cndmask_b32_e64 v40, v31, v33, s[12:13]
	v_add_u32_e32 v32, 1, v30
	v_cmp_ge_i32_e32 vcc, v40, v39
                                        ; implicit-def: $sgpr14_sgpr15
	s_and_saveexec_b64 s[0:1], vcc
	s_xor_b64 s[0:1], exec, s[0:1]
; %bb.167:
	s_mov_b64 s[14:15], 0
; %bb.168:
	s_or_saveexec_b64 s[16:17], s[0:1]
	v_cndmask_b32_e64 v41, v32, v30, s[12:13]
	s_xor_b64 exec, exec, s[16:17]
	s_cbranch_execz .LBB24_174
; %bb.169:
	v_cmp_lt_i32_e32 vcc, v41, v38
	s_waitcnt lgkmcnt(0)
	v_cmp_nlt_f32_e64 s[0:1], v28, v26
	s_and_b64 s[20:21], vcc, s[0:1]
	s_mov_b64 s[18:19], -1
	s_and_saveexec_b64 s[0:1], s[20:21]
	s_cbranch_execz .LBB24_173
; %bb.170:
	v_cmp_eq_f32_e32 vcc, v28, v26
	s_mov_b64 s[18:19], 0
	s_and_saveexec_b64 s[20:21], vcc
; %bb.171:
	v_cmp_lt_f32_e32 vcc, v29, v27
	s_and_b64 s[18:19], vcc, exec
; %bb.172:
	s_or_b64 exec, exec, s[20:21]
	s_orn2_b64 s[18:19], s[18:19], exec
.LBB24_173:
	s_or_b64 exec, exec, s[0:1]
	s_andn2_b64 s[0:1], s[14:15], exec
	s_and_b64 s[14:15], s[18:19], exec
	s_or_b64 s[14:15], s[0:1], s[14:15]
.LBB24_174:
	s_or_b64 exec, exec, s[16:17]
	s_xor_b64 s[0:1], s[14:15], -1
                                        ; implicit-def: $vgpr30_vgpr31
	s_and_saveexec_b64 s[16:17], s[0:1]
	s_xor_b64 s[0:1], exec, s[16:17]
	s_cbranch_execz .LBB24_176
; %bb.175:
	v_lshl_add_u32 v30, v41, 3, v34
	ds_read_b64 v[30:31], v30 offset:8
.LBB24_176:
	s_or_saveexec_b64 s[0:1], s[0:1]
	s_waitcnt lgkmcnt(0)
	v_pk_mov_b32 v[32:33], v[28:29], v[28:29] op_sel:[0,1]
	s_xor_b64 exec, exec, s[0:1]
	s_cbranch_execz .LBB24_178
; %bb.177:
	v_lshl_add_u32 v30, v40, 3, v34
	ds_read_b64 v[32:33], v30 offset:8
	v_pk_mov_b32 v[30:31], v[26:27], v[26:27] op_sel:[0,1]
.LBB24_178:
	s_or_b64 exec, exec, s[0:1]
	v_add_u32_e32 v42, 1, v40
	v_cndmask_b32_e64 v40, v40, v42, s[14:15]
	v_cmp_lt_i32_e32 vcc, v40, v39
	s_mov_b64 s[0:1], 0
	s_and_saveexec_b64 s[16:17], vcc
	s_cbranch_execz .LBB24_184
; %bb.179:
	v_add_u32_e32 v39, 1, v41
	v_cndmask_b32_e64 v39, v39, v41, s[14:15]
	v_cmp_lt_i32_e32 vcc, v39, v38
	s_waitcnt lgkmcnt(0)
	v_cmp_nlt_f32_e64 s[0:1], v32, v30
	s_and_b64 s[20:21], vcc, s[0:1]
	s_mov_b64 s[18:19], -1
	s_and_saveexec_b64 s[0:1], s[20:21]
	s_cbranch_execz .LBB24_183
; %bb.180:
	v_cmp_eq_f32_e32 vcc, v32, v30
	s_mov_b64 s[18:19], 0
	s_and_saveexec_b64 s[20:21], vcc
; %bb.181:
	v_cmp_lt_f32_e32 vcc, v33, v31
	s_and_b64 s[18:19], vcc, exec
; %bb.182:
	s_or_b64 exec, exec, s[20:21]
	s_orn2_b64 s[18:19], s[18:19], exec
.LBB24_183:
	s_or_b64 exec, exec, s[0:1]
	s_and_b64 s[0:1], s[18:19], exec
.LBB24_184:
	s_or_b64 exec, exec, s[16:17]
	v_cndmask_b32_e64 v10, v10, v12, s[6:7]
	v_cndmask_b32_e64 v7, v7, v9, s[4:5]
	;; [unrolled: 1-line block ×14, first 2 shown]
	s_waitcnt lgkmcnt(0)
	v_cndmask_b32_e64 v5, v31, v33, s[0:1]
	v_cndmask_b32_e64 v4, v30, v32, s[0:1]
	; wave barrier
	ds_write2_b64 v36, v[2:3], v[6:7] offset1:1
	ds_write2_b64 v36, v[10:11], v[14:15] offset0:2 offset1:3
	ds_write2_b64 v36, v[18:19], v[22:23] offset0:4 offset1:5
	;; [unrolled: 1-line block ×3, first 2 shown]
	v_and_b32_e32 v10, 0xc0, v37
	v_or_b32_e32 v38, 32, v10
	v_add_u32_e32 v39, 64, v10
	v_and_b32_e32 v6, 56, v37
	v_sub_u32_e32 v4, v39, v38
	v_sub_u32_e32 v3, v38, v10
	;; [unrolled: 1-line block ×3, first 2 shown]
	v_cmp_ge_i32_e32 vcc, v6, v4
	v_cndmask_b32_e32 v11, 0, v5, vcc
	v_min_i32_e32 v3, v6, v3
	v_lshl_add_u32 v2, v10, 3, v34
	v_cmp_lt_i32_e32 vcc, v11, v3
	; wave barrier
	s_and_saveexec_b64 s[0:1], vcc
	s_cbranch_execz .LBB24_192
; %bb.185:
	v_lshlrev_b32_e32 v4, 3, v6
	s_movk_i32 s2, 0x100
	v_add3_u32 v4, v2, v4, s2
	s_mov_b64 s[2:3], 0
                                        ; implicit-def: $sgpr4_sgpr5
	s_branch .LBB24_188
.LBB24_186:                             ;   in Loop: Header=BB24_188 Depth=1
	s_or_b64 exec, exec, s[10:11]
	s_andn2_b64 s[4:5], s[4:5], exec
	s_and_b64 s[8:9], s[8:9], exec
	s_or_b64 s[4:5], s[4:5], s[8:9]
.LBB24_187:                             ;   in Loop: Header=BB24_188 Depth=1
	s_or_b64 exec, exec, s[6:7]
	v_add_u32_e32 v7, 1, v5
	v_cndmask_b32_e64 v3, v3, v5, s[4:5]
	v_cndmask_b32_e64 v11, v7, v11, s[4:5]
	v_cmp_ge_i32_e32 vcc, v11, v3
	s_or_b64 s[2:3], vcc, s[2:3]
	s_andn2_b64 exec, exec, s[2:3]
	s_cbranch_execz .LBB24_191
.LBB24_188:                             ; =>This Inner Loop Header: Depth=1
	v_sub_u32_e32 v5, v3, v11
	v_lshrrev_b32_e32 v7, 31, v5
	v_add_u32_e32 v5, v5, v7
	v_ashrrev_i32_e32 v5, 1, v5
	v_add_u32_e32 v5, v5, v11
	v_lshl_add_u32 v7, v5, 3, v2
	v_not_b32_e32 v8, v5
	v_lshl_add_u32 v8, v8, 3, v4
	ds_read_b32 v9, v7
	ds_read_b32 v12, v8
	s_or_b64 s[4:5], s[4:5], exec
	s_waitcnt lgkmcnt(0)
	v_cmp_nlt_f32_e32 vcc, v12, v9
	s_and_saveexec_b64 s[6:7], vcc
	s_cbranch_execz .LBB24_187
; %bb.189:                              ;   in Loop: Header=BB24_188 Depth=1
	v_cmp_eq_f32_e32 vcc, v12, v9
	s_mov_b64 s[8:9], 0
	s_and_saveexec_b64 s[10:11], vcc
	s_cbranch_execz .LBB24_186
; %bb.190:                              ;   in Loop: Header=BB24_188 Depth=1
	ds_read_b32 v8, v8 offset:4
	ds_read_b32 v7, v7 offset:4
	s_waitcnt lgkmcnt(0)
	v_cmp_lt_f32_e32 vcc, v8, v7
	s_and_b64 s[8:9], vcc, exec
	s_branch .LBB24_186
.LBB24_191:
	s_or_b64 exec, exec, s[2:3]
.LBB24_192:
	s_or_b64 exec, exec, s[0:1]
	v_lshl_add_u32 v8, v11, 3, v2
	v_add_u32_e32 v2, v10, v6
	v_sub_u32_e32 v2, v2, v11
	v_lshl_add_u32 v13, v2, 3, v34
	ds_read_b64 v[2:3], v8
	ds_read_b64 v[4:5], v13 offset:256
	v_add_u32_e32 v6, v38, v6
	v_sub_u32_e32 v12, v6, v11
	v_cmp_le_i32_e32 vcc, v39, v12
                                        ; implicit-def: $sgpr2_sgpr3
	s_and_saveexec_b64 s[0:1], vcc
	s_xor_b64 s[0:1], exec, s[0:1]
; %bb.193:
	s_mov_b64 s[2:3], 0
; %bb.194:
	s_andn2_saveexec_b64 s[4:5], s[0:1]
	s_cbranch_execz .LBB24_200
; %bb.195:
	v_cmp_gt_i32_e32 vcc, 32, v11
	s_waitcnt lgkmcnt(0)
	v_cmp_nlt_f32_e64 s[0:1], v4, v2
	s_and_b64 s[8:9], vcc, s[0:1]
	s_mov_b64 s[6:7], -1
	s_and_saveexec_b64 s[0:1], s[8:9]
	s_cbranch_execz .LBB24_199
; %bb.196:
	v_cmp_eq_f32_e32 vcc, v4, v2
	s_mov_b64 s[6:7], 0
	s_and_saveexec_b64 s[8:9], vcc
; %bb.197:
	v_cmp_lt_f32_e32 vcc, v5, v3
	s_and_b64 s[6:7], vcc, exec
; %bb.198:
	s_or_b64 exec, exec, s[8:9]
	s_orn2_b64 s[6:7], s[6:7], exec
.LBB24_199:
	s_or_b64 exec, exec, s[0:1]
	s_andn2_b64 s[0:1], s[2:3], exec
	s_and_b64 s[2:3], s[6:7], exec
	s_or_b64 s[2:3], s[0:1], s[2:3]
.LBB24_200:
	s_or_b64 exec, exec, s[4:5]
	s_xor_b64 s[0:1], s[2:3], -1
                                        ; implicit-def: $vgpr6_vgpr7
	s_and_saveexec_b64 s[4:5], s[0:1]
	s_xor_b64 s[0:1], exec, s[4:5]
	s_cbranch_execz .LBB24_202
; %bb.201:
	ds_read_b64 v[6:7], v8 offset:8
                                        ; implicit-def: $vgpr13
.LBB24_202:
	s_or_saveexec_b64 s[0:1], s[0:1]
	s_waitcnt lgkmcnt(0)
	v_pk_mov_b32 v[8:9], v[4:5], v[4:5] op_sel:[0,1]
	s_xor_b64 exec, exec, s[0:1]
	s_cbranch_execz .LBB24_204
; %bb.203:
	ds_read_b64 v[8:9], v13 offset:264
	v_pk_mov_b32 v[6:7], v[2:3], v[2:3] op_sel:[0,1]
.LBB24_204:
	s_or_b64 exec, exec, s[0:1]
	v_add_u32_e32 v10, v11, v10
	v_add_u32_e32 v11, 1, v12
	v_add_u32_e32 v13, 1, v10
	v_cndmask_b32_e64 v15, v12, v11, s[2:3]
	v_cndmask_b32_e64 v14, v13, v10, s[2:3]
	v_cmp_lt_i32_e32 vcc, v15, v39
	s_mov_b64 s[4:5], 0
	s_and_saveexec_b64 s[6:7], vcc
	s_cbranch_execz .LBB24_210
; %bb.205:
	v_cmp_lt_i32_e32 vcc, v14, v38
	s_waitcnt lgkmcnt(0)
	v_cmp_nlt_f32_e64 s[0:1], v8, v6
	s_and_b64 s[8:9], vcc, s[0:1]
	s_mov_b64 s[4:5], -1
	s_and_saveexec_b64 s[0:1], s[8:9]
	s_cbranch_execz .LBB24_209
; %bb.206:
	v_cmp_eq_f32_e32 vcc, v8, v6
	s_mov_b64 s[4:5], 0
	s_and_saveexec_b64 s[8:9], vcc
; %bb.207:
	v_cmp_lt_f32_e32 vcc, v9, v7
	s_and_b64 s[4:5], vcc, exec
; %bb.208:
	s_or_b64 exec, exec, s[8:9]
	s_orn2_b64 s[4:5], s[4:5], exec
.LBB24_209:
	s_or_b64 exec, exec, s[0:1]
	s_and_b64 s[4:5], s[4:5], exec
.LBB24_210:
	s_or_b64 exec, exec, s[6:7]
	s_xor_b64 s[0:1], s[4:5], -1
                                        ; implicit-def: $vgpr10_vgpr11
	s_and_saveexec_b64 s[6:7], s[0:1]
	s_xor_b64 s[0:1], exec, s[6:7]
	s_cbranch_execz .LBB24_212
; %bb.211:
	v_lshl_add_u32 v10, v14, 3, v34
	ds_read_b64 v[10:11], v10 offset:8
.LBB24_212:
	s_or_saveexec_b64 s[0:1], s[0:1]
	s_waitcnt lgkmcnt(0)
	v_pk_mov_b32 v[12:13], v[8:9], v[8:9] op_sel:[0,1]
	s_xor_b64 exec, exec, s[0:1]
	s_cbranch_execz .LBB24_214
; %bb.213:
	v_lshl_add_u32 v10, v15, 3, v34
	ds_read_b64 v[12:13], v10 offset:8
	v_pk_mov_b32 v[10:11], v[6:7], v[6:7] op_sel:[0,1]
.LBB24_214:
	s_or_b64 exec, exec, s[0:1]
	v_add_u32_e32 v17, 1, v15
	v_cndmask_b32_e64 v18, v15, v17, s[4:5]
	v_add_u32_e32 v16, 1, v14
	v_cmp_ge_i32_e32 vcc, v18, v39
                                        ; implicit-def: $sgpr6_sgpr7
	s_and_saveexec_b64 s[0:1], vcc
	s_xor_b64 s[0:1], exec, s[0:1]
; %bb.215:
	s_mov_b64 s[6:7], 0
; %bb.216:
	s_or_saveexec_b64 s[8:9], s[0:1]
	v_cndmask_b32_e64 v19, v16, v14, s[4:5]
	s_xor_b64 exec, exec, s[8:9]
	s_cbranch_execz .LBB24_222
; %bb.217:
	v_cmp_lt_i32_e32 vcc, v19, v38
	s_waitcnt lgkmcnt(0)
	v_cmp_nlt_f32_e64 s[0:1], v12, v10
	s_and_b64 s[12:13], vcc, s[0:1]
	s_mov_b64 s[10:11], -1
	s_and_saveexec_b64 s[0:1], s[12:13]
	s_cbranch_execz .LBB24_221
; %bb.218:
	v_cmp_eq_f32_e32 vcc, v12, v10
	s_mov_b64 s[10:11], 0
	s_and_saveexec_b64 s[12:13], vcc
; %bb.219:
	v_cmp_lt_f32_e32 vcc, v13, v11
	s_and_b64 s[10:11], vcc, exec
; %bb.220:
	s_or_b64 exec, exec, s[12:13]
	s_orn2_b64 s[10:11], s[10:11], exec
.LBB24_221:
	s_or_b64 exec, exec, s[0:1]
	s_andn2_b64 s[0:1], s[6:7], exec
	s_and_b64 s[6:7], s[10:11], exec
	s_or_b64 s[6:7], s[0:1], s[6:7]
.LBB24_222:
	s_or_b64 exec, exec, s[8:9]
	s_xor_b64 s[0:1], s[6:7], -1
                                        ; implicit-def: $vgpr14_vgpr15
	s_and_saveexec_b64 s[8:9], s[0:1]
	s_xor_b64 s[0:1], exec, s[8:9]
	s_cbranch_execz .LBB24_224
; %bb.223:
	v_lshl_add_u32 v14, v19, 3, v34
	ds_read_b64 v[14:15], v14 offset:8
.LBB24_224:
	s_or_saveexec_b64 s[0:1], s[0:1]
	s_waitcnt lgkmcnt(0)
	v_pk_mov_b32 v[16:17], v[12:13], v[12:13] op_sel:[0,1]
	s_xor_b64 exec, exec, s[0:1]
	s_cbranch_execz .LBB24_226
; %bb.225:
	v_lshl_add_u32 v14, v18, 3, v34
	ds_read_b64 v[16:17], v14 offset:8
	v_pk_mov_b32 v[14:15], v[10:11], v[10:11] op_sel:[0,1]
.LBB24_226:
	s_or_b64 exec, exec, s[0:1]
	v_add_u32_e32 v20, 1, v18
	v_add_u32_e32 v21, 1, v19
	v_cndmask_b32_e64 v23, v18, v20, s[6:7]
	v_cndmask_b32_e64 v22, v21, v19, s[6:7]
	v_cmp_lt_i32_e32 vcc, v23, v39
	s_mov_b64 s[8:9], 0
	s_and_saveexec_b64 s[10:11], vcc
	s_cbranch_execz .LBB24_232
; %bb.227:
	v_cmp_lt_i32_e32 vcc, v22, v38
	s_waitcnt lgkmcnt(0)
	v_cmp_nlt_f32_e64 s[0:1], v16, v14
	s_and_b64 s[12:13], vcc, s[0:1]
	s_mov_b64 s[8:9], -1
	s_and_saveexec_b64 s[0:1], s[12:13]
	s_cbranch_execz .LBB24_231
; %bb.228:
	v_cmp_eq_f32_e32 vcc, v16, v14
	s_mov_b64 s[8:9], 0
	s_and_saveexec_b64 s[12:13], vcc
; %bb.229:
	v_cmp_lt_f32_e32 vcc, v17, v15
	s_and_b64 s[8:9], vcc, exec
; %bb.230:
	s_or_b64 exec, exec, s[12:13]
	s_orn2_b64 s[8:9], s[8:9], exec
.LBB24_231:
	s_or_b64 exec, exec, s[0:1]
	s_and_b64 s[8:9], s[8:9], exec
.LBB24_232:
	s_or_b64 exec, exec, s[10:11]
	s_xor_b64 s[0:1], s[8:9], -1
                                        ; implicit-def: $vgpr18_vgpr19
	s_and_saveexec_b64 s[10:11], s[0:1]
	s_xor_b64 s[0:1], exec, s[10:11]
	s_cbranch_execz .LBB24_234
; %bb.233:
	v_lshl_add_u32 v18, v22, 3, v34
	ds_read_b64 v[18:19], v18 offset:8
.LBB24_234:
	s_or_saveexec_b64 s[0:1], s[0:1]
	s_waitcnt lgkmcnt(0)
	v_pk_mov_b32 v[20:21], v[16:17], v[16:17] op_sel:[0,1]
	s_xor_b64 exec, exec, s[0:1]
	s_cbranch_execz .LBB24_236
; %bb.235:
	v_lshl_add_u32 v18, v23, 3, v34
	ds_read_b64 v[20:21], v18 offset:8
	v_pk_mov_b32 v[18:19], v[14:15], v[14:15] op_sel:[0,1]
.LBB24_236:
	s_or_b64 exec, exec, s[0:1]
	v_add_u32_e32 v25, 1, v23
	v_cndmask_b32_e64 v26, v23, v25, s[8:9]
	v_add_u32_e32 v24, 1, v22
	v_cmp_ge_i32_e32 vcc, v26, v39
                                        ; implicit-def: $sgpr10_sgpr11
	s_and_saveexec_b64 s[0:1], vcc
	s_xor_b64 s[0:1], exec, s[0:1]
; %bb.237:
	s_mov_b64 s[10:11], 0
; %bb.238:
	s_or_saveexec_b64 s[12:13], s[0:1]
	v_cndmask_b32_e64 v27, v24, v22, s[8:9]
	s_xor_b64 exec, exec, s[12:13]
	s_cbranch_execz .LBB24_244
; %bb.239:
	v_cmp_lt_i32_e32 vcc, v27, v38
	s_waitcnt lgkmcnt(0)
	v_cmp_nlt_f32_e64 s[0:1], v20, v18
	s_and_b64 s[16:17], vcc, s[0:1]
	s_mov_b64 s[14:15], -1
	s_and_saveexec_b64 s[0:1], s[16:17]
	s_cbranch_execz .LBB24_243
; %bb.240:
	v_cmp_eq_f32_e32 vcc, v20, v18
	s_mov_b64 s[14:15], 0
	s_and_saveexec_b64 s[16:17], vcc
; %bb.241:
	v_cmp_lt_f32_e32 vcc, v21, v19
	s_and_b64 s[14:15], vcc, exec
; %bb.242:
	s_or_b64 exec, exec, s[16:17]
	s_orn2_b64 s[14:15], s[14:15], exec
.LBB24_243:
	s_or_b64 exec, exec, s[0:1]
	s_andn2_b64 s[0:1], s[10:11], exec
	s_and_b64 s[10:11], s[14:15], exec
	s_or_b64 s[10:11], s[0:1], s[10:11]
.LBB24_244:
	s_or_b64 exec, exec, s[12:13]
	s_xor_b64 s[0:1], s[10:11], -1
                                        ; implicit-def: $vgpr22_vgpr23
	s_and_saveexec_b64 s[12:13], s[0:1]
	s_xor_b64 s[0:1], exec, s[12:13]
	s_cbranch_execz .LBB24_246
; %bb.245:
	v_lshl_add_u32 v22, v27, 3, v34
	ds_read_b64 v[22:23], v22 offset:8
.LBB24_246:
	s_or_saveexec_b64 s[0:1], s[0:1]
	s_waitcnt lgkmcnt(0)
	v_pk_mov_b32 v[24:25], v[20:21], v[20:21] op_sel:[0,1]
	s_xor_b64 exec, exec, s[0:1]
	s_cbranch_execz .LBB24_248
; %bb.247:
	v_lshl_add_u32 v22, v26, 3, v34
	ds_read_b64 v[24:25], v22 offset:8
	v_pk_mov_b32 v[22:23], v[18:19], v[18:19] op_sel:[0,1]
.LBB24_248:
	s_or_b64 exec, exec, s[0:1]
	v_add_u32_e32 v28, 1, v26
	v_add_u32_e32 v29, 1, v27
	v_cndmask_b32_e64 v31, v26, v28, s[10:11]
	v_cndmask_b32_e64 v30, v29, v27, s[10:11]
	v_cmp_lt_i32_e32 vcc, v31, v39
	s_mov_b64 s[12:13], 0
	s_and_saveexec_b64 s[14:15], vcc
	s_cbranch_execz .LBB24_254
; %bb.249:
	v_cmp_lt_i32_e32 vcc, v30, v38
	s_waitcnt lgkmcnt(0)
	v_cmp_nlt_f32_e64 s[0:1], v24, v22
	s_and_b64 s[16:17], vcc, s[0:1]
	s_mov_b64 s[12:13], -1
	s_and_saveexec_b64 s[0:1], s[16:17]
	s_cbranch_execz .LBB24_253
; %bb.250:
	v_cmp_eq_f32_e32 vcc, v24, v22
	s_mov_b64 s[12:13], 0
	s_and_saveexec_b64 s[16:17], vcc
; %bb.251:
	v_cmp_lt_f32_e32 vcc, v25, v23
	s_and_b64 s[12:13], vcc, exec
; %bb.252:
	s_or_b64 exec, exec, s[16:17]
	s_orn2_b64 s[12:13], s[12:13], exec
.LBB24_253:
	s_or_b64 exec, exec, s[0:1]
	s_and_b64 s[12:13], s[12:13], exec
.LBB24_254:
	s_or_b64 exec, exec, s[14:15]
	s_xor_b64 s[0:1], s[12:13], -1
                                        ; implicit-def: $vgpr26_vgpr27
	s_and_saveexec_b64 s[14:15], s[0:1]
	s_xor_b64 s[0:1], exec, s[14:15]
	s_cbranch_execz .LBB24_256
; %bb.255:
	v_lshl_add_u32 v26, v30, 3, v34
	ds_read_b64 v[26:27], v26 offset:8
.LBB24_256:
	s_or_saveexec_b64 s[0:1], s[0:1]
	s_waitcnt lgkmcnt(0)
	v_pk_mov_b32 v[28:29], v[24:25], v[24:25] op_sel:[0,1]
	s_xor_b64 exec, exec, s[0:1]
	s_cbranch_execz .LBB24_258
; %bb.257:
	v_lshl_add_u32 v26, v31, 3, v34
	ds_read_b64 v[28:29], v26 offset:8
	v_pk_mov_b32 v[26:27], v[22:23], v[22:23] op_sel:[0,1]
.LBB24_258:
	s_or_b64 exec, exec, s[0:1]
	v_add_u32_e32 v33, 1, v31
	v_cndmask_b32_e64 v40, v31, v33, s[12:13]
	v_add_u32_e32 v32, 1, v30
	v_cmp_ge_i32_e32 vcc, v40, v39
                                        ; implicit-def: $sgpr14_sgpr15
	s_and_saveexec_b64 s[0:1], vcc
	s_xor_b64 s[0:1], exec, s[0:1]
; %bb.259:
	s_mov_b64 s[14:15], 0
; %bb.260:
	s_or_saveexec_b64 s[16:17], s[0:1]
	v_cndmask_b32_e64 v41, v32, v30, s[12:13]
	s_xor_b64 exec, exec, s[16:17]
	s_cbranch_execz .LBB24_266
; %bb.261:
	v_cmp_lt_i32_e32 vcc, v41, v38
	s_waitcnt lgkmcnt(0)
	v_cmp_nlt_f32_e64 s[0:1], v28, v26
	s_and_b64 s[20:21], vcc, s[0:1]
	s_mov_b64 s[18:19], -1
	s_and_saveexec_b64 s[0:1], s[20:21]
	s_cbranch_execz .LBB24_265
; %bb.262:
	v_cmp_eq_f32_e32 vcc, v28, v26
	s_mov_b64 s[18:19], 0
	s_and_saveexec_b64 s[20:21], vcc
; %bb.263:
	v_cmp_lt_f32_e32 vcc, v29, v27
	s_and_b64 s[18:19], vcc, exec
; %bb.264:
	s_or_b64 exec, exec, s[20:21]
	s_orn2_b64 s[18:19], s[18:19], exec
.LBB24_265:
	s_or_b64 exec, exec, s[0:1]
	s_andn2_b64 s[0:1], s[14:15], exec
	s_and_b64 s[14:15], s[18:19], exec
	s_or_b64 s[14:15], s[0:1], s[14:15]
.LBB24_266:
	s_or_b64 exec, exec, s[16:17]
	s_xor_b64 s[0:1], s[14:15], -1
                                        ; implicit-def: $vgpr30_vgpr31
	s_and_saveexec_b64 s[16:17], s[0:1]
	s_xor_b64 s[0:1], exec, s[16:17]
	s_cbranch_execz .LBB24_268
; %bb.267:
	v_lshl_add_u32 v30, v41, 3, v34
	ds_read_b64 v[30:31], v30 offset:8
.LBB24_268:
	s_or_saveexec_b64 s[0:1], s[0:1]
	s_waitcnt lgkmcnt(0)
	v_pk_mov_b32 v[32:33], v[28:29], v[28:29] op_sel:[0,1]
	s_xor_b64 exec, exec, s[0:1]
	s_cbranch_execz .LBB24_270
; %bb.269:
	v_lshl_add_u32 v30, v40, 3, v34
	ds_read_b64 v[32:33], v30 offset:8
	v_pk_mov_b32 v[30:31], v[26:27], v[26:27] op_sel:[0,1]
.LBB24_270:
	s_or_b64 exec, exec, s[0:1]
	v_add_u32_e32 v42, 1, v40
	v_cndmask_b32_e64 v40, v40, v42, s[14:15]
	v_cmp_lt_i32_e32 vcc, v40, v39
	s_mov_b64 s[0:1], 0
	s_and_saveexec_b64 s[16:17], vcc
	s_cbranch_execz .LBB24_276
; %bb.271:
	v_add_u32_e32 v39, 1, v41
	v_cndmask_b32_e64 v39, v39, v41, s[14:15]
	v_cmp_lt_i32_e32 vcc, v39, v38
	s_waitcnt lgkmcnt(0)
	v_cmp_nlt_f32_e64 s[0:1], v32, v30
	s_and_b64 s[20:21], vcc, s[0:1]
	s_mov_b64 s[18:19], -1
	s_and_saveexec_b64 s[0:1], s[20:21]
	s_cbranch_execz .LBB24_275
; %bb.272:
	v_cmp_eq_f32_e32 vcc, v32, v30
	s_mov_b64 s[18:19], 0
	s_and_saveexec_b64 s[20:21], vcc
; %bb.273:
	v_cmp_lt_f32_e32 vcc, v33, v31
	s_and_b64 s[18:19], vcc, exec
; %bb.274:
	s_or_b64 exec, exec, s[20:21]
	s_orn2_b64 s[18:19], s[18:19], exec
.LBB24_275:
	s_or_b64 exec, exec, s[0:1]
	s_and_b64 s[0:1], s[18:19], exec
.LBB24_276:
	s_or_b64 exec, exec, s[16:17]
	v_cndmask_b32_e64 v10, v10, v12, s[6:7]
	v_cndmask_b32_e64 v7, v7, v9, s[4:5]
	;; [unrolled: 1-line block ×14, first 2 shown]
	s_waitcnt lgkmcnt(0)
	v_cndmask_b32_e64 v5, v31, v33, s[0:1]
	v_cndmask_b32_e64 v4, v30, v32, s[0:1]
	; wave barrier
	ds_write2_b64 v36, v[2:3], v[6:7] offset1:1
	ds_write2_b64 v36, v[10:11], v[14:15] offset0:2 offset1:3
	ds_write2_b64 v36, v[18:19], v[22:23] offset0:4 offset1:5
	;; [unrolled: 1-line block ×3, first 2 shown]
	v_and_b32_e32 v10, 0x80, v37
	v_and_b32_e32 v6, 0x78, v37
	v_or_b32_e32 v37, 64, v10
	v_add_u32_e32 v38, 0x80, v10
	v_sub_u32_e32 v4, v38, v37
	v_sub_u32_e32 v3, v37, v10
	;; [unrolled: 1-line block ×3, first 2 shown]
	v_cmp_ge_i32_e32 vcc, v6, v4
	v_cndmask_b32_e32 v11, 0, v5, vcc
	v_min_i32_e32 v3, v6, v3
	v_lshl_add_u32 v2, v10, 3, v34
	v_cmp_lt_i32_e32 vcc, v11, v3
	; wave barrier
	s_and_saveexec_b64 s[0:1], vcc
	s_cbranch_execz .LBB24_284
; %bb.277:
	v_lshlrev_b32_e32 v4, 3, v6
	s_movk_i32 s2, 0x200
	v_add3_u32 v4, v2, v4, s2
	s_mov_b64 s[2:3], 0
                                        ; implicit-def: $sgpr4_sgpr5
	s_branch .LBB24_280
.LBB24_278:                             ;   in Loop: Header=BB24_280 Depth=1
	s_or_b64 exec, exec, s[10:11]
	s_andn2_b64 s[4:5], s[4:5], exec
	s_and_b64 s[8:9], s[8:9], exec
	s_or_b64 s[4:5], s[4:5], s[8:9]
.LBB24_279:                             ;   in Loop: Header=BB24_280 Depth=1
	s_or_b64 exec, exec, s[6:7]
	v_add_u32_e32 v7, 1, v5
	v_cndmask_b32_e64 v3, v3, v5, s[4:5]
	v_cndmask_b32_e64 v11, v7, v11, s[4:5]
	v_cmp_ge_i32_e32 vcc, v11, v3
	s_or_b64 s[2:3], vcc, s[2:3]
	s_andn2_b64 exec, exec, s[2:3]
	s_cbranch_execz .LBB24_283
.LBB24_280:                             ; =>This Inner Loop Header: Depth=1
	v_sub_u32_e32 v5, v3, v11
	v_lshrrev_b32_e32 v7, 31, v5
	v_add_u32_e32 v5, v5, v7
	v_ashrrev_i32_e32 v5, 1, v5
	v_add_u32_e32 v5, v5, v11
	v_lshl_add_u32 v7, v5, 3, v2
	v_not_b32_e32 v8, v5
	v_lshl_add_u32 v8, v8, 3, v4
	ds_read_b32 v9, v7
	ds_read_b32 v12, v8
	s_or_b64 s[4:5], s[4:5], exec
	s_waitcnt lgkmcnt(0)
	v_cmp_nlt_f32_e32 vcc, v12, v9
	s_and_saveexec_b64 s[6:7], vcc
	s_cbranch_execz .LBB24_279
; %bb.281:                              ;   in Loop: Header=BB24_280 Depth=1
	v_cmp_eq_f32_e32 vcc, v12, v9
	s_mov_b64 s[8:9], 0
	s_and_saveexec_b64 s[10:11], vcc
	s_cbranch_execz .LBB24_278
; %bb.282:                              ;   in Loop: Header=BB24_280 Depth=1
	ds_read_b32 v8, v8 offset:4
	ds_read_b32 v7, v7 offset:4
	s_waitcnt lgkmcnt(0)
	v_cmp_lt_f32_e32 vcc, v8, v7
	s_and_b64 s[8:9], vcc, exec
	s_branch .LBB24_278
.LBB24_283:
	s_or_b64 exec, exec, s[2:3]
.LBB24_284:
	s_or_b64 exec, exec, s[0:1]
	v_lshl_add_u32 v8, v11, 3, v2
	v_add_u32_e32 v2, v10, v6
	v_sub_u32_e32 v2, v2, v11
	v_lshl_add_u32 v13, v2, 3, v34
	ds_read_b64 v[2:3], v8
	ds_read_b64 v[4:5], v13 offset:512
	v_add_u32_e32 v6, v37, v6
	v_sub_u32_e32 v12, v6, v11
	v_cmp_le_i32_e32 vcc, v38, v12
                                        ; implicit-def: $sgpr2_sgpr3
	s_and_saveexec_b64 s[0:1], vcc
	s_xor_b64 s[0:1], exec, s[0:1]
; %bb.285:
	s_mov_b64 s[2:3], 0
; %bb.286:
	s_andn2_saveexec_b64 s[4:5], s[0:1]
	s_cbranch_execz .LBB24_292
; %bb.287:
	v_cmp_gt_i32_e32 vcc, 64, v11
	s_waitcnt lgkmcnt(0)
	v_cmp_nlt_f32_e64 s[0:1], v4, v2
	s_and_b64 s[8:9], vcc, s[0:1]
	s_mov_b64 s[6:7], -1
	s_and_saveexec_b64 s[0:1], s[8:9]
	s_cbranch_execz .LBB24_291
; %bb.288:
	v_cmp_eq_f32_e32 vcc, v4, v2
	s_mov_b64 s[6:7], 0
	s_and_saveexec_b64 s[8:9], vcc
; %bb.289:
	v_cmp_lt_f32_e32 vcc, v5, v3
	s_and_b64 s[6:7], vcc, exec
; %bb.290:
	s_or_b64 exec, exec, s[8:9]
	s_orn2_b64 s[6:7], s[6:7], exec
.LBB24_291:
	s_or_b64 exec, exec, s[0:1]
	s_andn2_b64 s[0:1], s[2:3], exec
	s_and_b64 s[2:3], s[6:7], exec
	s_or_b64 s[2:3], s[0:1], s[2:3]
.LBB24_292:
	s_or_b64 exec, exec, s[4:5]
	s_xor_b64 s[0:1], s[2:3], -1
                                        ; implicit-def: $vgpr6_vgpr7
	s_and_saveexec_b64 s[4:5], s[0:1]
	s_xor_b64 s[0:1], exec, s[4:5]
	s_cbranch_execz .LBB24_294
; %bb.293:
	ds_read_b64 v[6:7], v8 offset:8
                                        ; implicit-def: $vgpr13
.LBB24_294:
	s_or_saveexec_b64 s[0:1], s[0:1]
	s_waitcnt lgkmcnt(0)
	v_pk_mov_b32 v[8:9], v[4:5], v[4:5] op_sel:[0,1]
	s_xor_b64 exec, exec, s[0:1]
	s_cbranch_execz .LBB24_296
; %bb.295:
	ds_read_b64 v[8:9], v13 offset:520
	v_pk_mov_b32 v[6:7], v[2:3], v[2:3] op_sel:[0,1]
.LBB24_296:
	s_or_b64 exec, exec, s[0:1]
	v_add_u32_e32 v10, v11, v10
	v_add_u32_e32 v11, 1, v12
	;; [unrolled: 1-line block ×3, first 2 shown]
	v_cndmask_b32_e64 v15, v12, v11, s[2:3]
	v_cndmask_b32_e64 v14, v13, v10, s[2:3]
	v_cmp_lt_i32_e32 vcc, v15, v38
	s_mov_b64 s[4:5], 0
	s_and_saveexec_b64 s[6:7], vcc
	s_cbranch_execz .LBB24_302
; %bb.297:
	v_cmp_lt_i32_e32 vcc, v14, v37
	s_waitcnt lgkmcnt(0)
	v_cmp_nlt_f32_e64 s[0:1], v8, v6
	s_and_b64 s[8:9], vcc, s[0:1]
	s_mov_b64 s[4:5], -1
	s_and_saveexec_b64 s[0:1], s[8:9]
	s_cbranch_execz .LBB24_301
; %bb.298:
	v_cmp_eq_f32_e32 vcc, v8, v6
	s_mov_b64 s[4:5], 0
	s_and_saveexec_b64 s[8:9], vcc
; %bb.299:
	v_cmp_lt_f32_e32 vcc, v9, v7
	s_and_b64 s[4:5], vcc, exec
; %bb.300:
	s_or_b64 exec, exec, s[8:9]
	s_orn2_b64 s[4:5], s[4:5], exec
.LBB24_301:
	s_or_b64 exec, exec, s[0:1]
	s_and_b64 s[4:5], s[4:5], exec
.LBB24_302:
	s_or_b64 exec, exec, s[6:7]
	s_xor_b64 s[0:1], s[4:5], -1
                                        ; implicit-def: $vgpr10_vgpr11
	s_and_saveexec_b64 s[6:7], s[0:1]
	s_xor_b64 s[0:1], exec, s[6:7]
	s_cbranch_execz .LBB24_304
; %bb.303:
	v_lshl_add_u32 v10, v14, 3, v34
	ds_read_b64 v[10:11], v10 offset:8
.LBB24_304:
	s_or_saveexec_b64 s[0:1], s[0:1]
	s_waitcnt lgkmcnt(0)
	v_pk_mov_b32 v[12:13], v[8:9], v[8:9] op_sel:[0,1]
	s_xor_b64 exec, exec, s[0:1]
	s_cbranch_execz .LBB24_306
; %bb.305:
	v_lshl_add_u32 v10, v15, 3, v34
	ds_read_b64 v[12:13], v10 offset:8
	v_pk_mov_b32 v[10:11], v[6:7], v[6:7] op_sel:[0,1]
.LBB24_306:
	s_or_b64 exec, exec, s[0:1]
	v_add_u32_e32 v17, 1, v15
	v_cndmask_b32_e64 v18, v15, v17, s[4:5]
	v_add_u32_e32 v16, 1, v14
	v_cmp_ge_i32_e32 vcc, v18, v38
                                        ; implicit-def: $sgpr6_sgpr7
	s_and_saveexec_b64 s[0:1], vcc
	s_xor_b64 s[0:1], exec, s[0:1]
; %bb.307:
	s_mov_b64 s[6:7], 0
; %bb.308:
	s_or_saveexec_b64 s[8:9], s[0:1]
	v_cndmask_b32_e64 v19, v16, v14, s[4:5]
	s_xor_b64 exec, exec, s[8:9]
	s_cbranch_execz .LBB24_314
; %bb.309:
	v_cmp_lt_i32_e32 vcc, v19, v37
	s_waitcnt lgkmcnt(0)
	v_cmp_nlt_f32_e64 s[0:1], v12, v10
	s_and_b64 s[12:13], vcc, s[0:1]
	s_mov_b64 s[10:11], -1
	s_and_saveexec_b64 s[0:1], s[12:13]
	s_cbranch_execz .LBB24_313
; %bb.310:
	v_cmp_eq_f32_e32 vcc, v12, v10
	s_mov_b64 s[10:11], 0
	s_and_saveexec_b64 s[12:13], vcc
; %bb.311:
	v_cmp_lt_f32_e32 vcc, v13, v11
	s_and_b64 s[10:11], vcc, exec
; %bb.312:
	s_or_b64 exec, exec, s[12:13]
	s_orn2_b64 s[10:11], s[10:11], exec
.LBB24_313:
	s_or_b64 exec, exec, s[0:1]
	s_andn2_b64 s[0:1], s[6:7], exec
	s_and_b64 s[6:7], s[10:11], exec
	s_or_b64 s[6:7], s[0:1], s[6:7]
.LBB24_314:
	s_or_b64 exec, exec, s[8:9]
	s_xor_b64 s[0:1], s[6:7], -1
                                        ; implicit-def: $vgpr14_vgpr15
	s_and_saveexec_b64 s[8:9], s[0:1]
	s_xor_b64 s[0:1], exec, s[8:9]
	s_cbranch_execz .LBB24_316
; %bb.315:
	v_lshl_add_u32 v14, v19, 3, v34
	ds_read_b64 v[14:15], v14 offset:8
.LBB24_316:
	s_or_saveexec_b64 s[0:1], s[0:1]
	s_waitcnt lgkmcnt(0)
	v_pk_mov_b32 v[16:17], v[12:13], v[12:13] op_sel:[0,1]
	s_xor_b64 exec, exec, s[0:1]
	s_cbranch_execz .LBB24_318
; %bb.317:
	v_lshl_add_u32 v14, v18, 3, v34
	ds_read_b64 v[16:17], v14 offset:8
	v_pk_mov_b32 v[14:15], v[10:11], v[10:11] op_sel:[0,1]
.LBB24_318:
	s_or_b64 exec, exec, s[0:1]
	v_add_u32_e32 v20, 1, v18
	v_add_u32_e32 v21, 1, v19
	v_cndmask_b32_e64 v23, v18, v20, s[6:7]
	v_cndmask_b32_e64 v22, v21, v19, s[6:7]
	v_cmp_lt_i32_e32 vcc, v23, v38
	s_mov_b64 s[8:9], 0
	s_and_saveexec_b64 s[10:11], vcc
	s_cbranch_execz .LBB24_324
; %bb.319:
	v_cmp_lt_i32_e32 vcc, v22, v37
	s_waitcnt lgkmcnt(0)
	v_cmp_nlt_f32_e64 s[0:1], v16, v14
	s_and_b64 s[12:13], vcc, s[0:1]
	s_mov_b64 s[8:9], -1
	s_and_saveexec_b64 s[0:1], s[12:13]
	s_cbranch_execz .LBB24_323
; %bb.320:
	v_cmp_eq_f32_e32 vcc, v16, v14
	s_mov_b64 s[8:9], 0
	s_and_saveexec_b64 s[12:13], vcc
; %bb.321:
	v_cmp_lt_f32_e32 vcc, v17, v15
	s_and_b64 s[8:9], vcc, exec
; %bb.322:
	s_or_b64 exec, exec, s[12:13]
	s_orn2_b64 s[8:9], s[8:9], exec
.LBB24_323:
	s_or_b64 exec, exec, s[0:1]
	s_and_b64 s[8:9], s[8:9], exec
.LBB24_324:
	s_or_b64 exec, exec, s[10:11]
	s_xor_b64 s[0:1], s[8:9], -1
                                        ; implicit-def: $vgpr18_vgpr19
	s_and_saveexec_b64 s[10:11], s[0:1]
	s_xor_b64 s[0:1], exec, s[10:11]
	s_cbranch_execz .LBB24_326
; %bb.325:
	v_lshl_add_u32 v18, v22, 3, v34
	ds_read_b64 v[18:19], v18 offset:8
.LBB24_326:
	s_or_saveexec_b64 s[0:1], s[0:1]
	s_waitcnt lgkmcnt(0)
	v_pk_mov_b32 v[20:21], v[16:17], v[16:17] op_sel:[0,1]
	s_xor_b64 exec, exec, s[0:1]
	s_cbranch_execz .LBB24_328
; %bb.327:
	v_lshl_add_u32 v18, v23, 3, v34
	ds_read_b64 v[20:21], v18 offset:8
	v_pk_mov_b32 v[18:19], v[14:15], v[14:15] op_sel:[0,1]
.LBB24_328:
	s_or_b64 exec, exec, s[0:1]
	v_add_u32_e32 v25, 1, v23
	v_cndmask_b32_e64 v26, v23, v25, s[8:9]
	v_add_u32_e32 v24, 1, v22
	v_cmp_ge_i32_e32 vcc, v26, v38
                                        ; implicit-def: $sgpr10_sgpr11
	s_and_saveexec_b64 s[0:1], vcc
	s_xor_b64 s[0:1], exec, s[0:1]
; %bb.329:
	s_mov_b64 s[10:11], 0
; %bb.330:
	s_or_saveexec_b64 s[12:13], s[0:1]
	v_cndmask_b32_e64 v27, v24, v22, s[8:9]
	s_xor_b64 exec, exec, s[12:13]
	s_cbranch_execz .LBB24_336
; %bb.331:
	v_cmp_lt_i32_e32 vcc, v27, v37
	s_waitcnt lgkmcnt(0)
	v_cmp_nlt_f32_e64 s[0:1], v20, v18
	s_and_b64 s[16:17], vcc, s[0:1]
	s_mov_b64 s[14:15], -1
	s_and_saveexec_b64 s[0:1], s[16:17]
	s_cbranch_execz .LBB24_335
; %bb.332:
	v_cmp_eq_f32_e32 vcc, v20, v18
	s_mov_b64 s[14:15], 0
	s_and_saveexec_b64 s[16:17], vcc
; %bb.333:
	v_cmp_lt_f32_e32 vcc, v21, v19
	s_and_b64 s[14:15], vcc, exec
; %bb.334:
	s_or_b64 exec, exec, s[16:17]
	s_orn2_b64 s[14:15], s[14:15], exec
.LBB24_335:
	s_or_b64 exec, exec, s[0:1]
	s_andn2_b64 s[0:1], s[10:11], exec
	s_and_b64 s[10:11], s[14:15], exec
	s_or_b64 s[10:11], s[0:1], s[10:11]
.LBB24_336:
	s_or_b64 exec, exec, s[12:13]
	s_xor_b64 s[0:1], s[10:11], -1
                                        ; implicit-def: $vgpr22_vgpr23
	s_and_saveexec_b64 s[12:13], s[0:1]
	s_xor_b64 s[0:1], exec, s[12:13]
	s_cbranch_execz .LBB24_338
; %bb.337:
	v_lshl_add_u32 v22, v27, 3, v34
	ds_read_b64 v[22:23], v22 offset:8
.LBB24_338:
	s_or_saveexec_b64 s[0:1], s[0:1]
	s_waitcnt lgkmcnt(0)
	v_pk_mov_b32 v[24:25], v[20:21], v[20:21] op_sel:[0,1]
	s_xor_b64 exec, exec, s[0:1]
	s_cbranch_execz .LBB24_340
; %bb.339:
	v_lshl_add_u32 v22, v26, 3, v34
	ds_read_b64 v[24:25], v22 offset:8
	v_pk_mov_b32 v[22:23], v[18:19], v[18:19] op_sel:[0,1]
.LBB24_340:
	s_or_b64 exec, exec, s[0:1]
	v_add_u32_e32 v28, 1, v26
	v_add_u32_e32 v29, 1, v27
	v_cndmask_b32_e64 v31, v26, v28, s[10:11]
	v_cndmask_b32_e64 v30, v29, v27, s[10:11]
	v_cmp_lt_i32_e32 vcc, v31, v38
	s_mov_b64 s[12:13], 0
	s_and_saveexec_b64 s[14:15], vcc
	s_cbranch_execz .LBB24_346
; %bb.341:
	v_cmp_lt_i32_e32 vcc, v30, v37
	s_waitcnt lgkmcnt(0)
	v_cmp_nlt_f32_e64 s[0:1], v24, v22
	s_and_b64 s[16:17], vcc, s[0:1]
	s_mov_b64 s[12:13], -1
	s_and_saveexec_b64 s[0:1], s[16:17]
	s_cbranch_execz .LBB24_345
; %bb.342:
	v_cmp_eq_f32_e32 vcc, v24, v22
	s_mov_b64 s[12:13], 0
	s_and_saveexec_b64 s[16:17], vcc
; %bb.343:
	v_cmp_lt_f32_e32 vcc, v25, v23
	s_and_b64 s[12:13], vcc, exec
; %bb.344:
	s_or_b64 exec, exec, s[16:17]
	s_orn2_b64 s[12:13], s[12:13], exec
.LBB24_345:
	s_or_b64 exec, exec, s[0:1]
	s_and_b64 s[12:13], s[12:13], exec
.LBB24_346:
	s_or_b64 exec, exec, s[14:15]
	s_xor_b64 s[0:1], s[12:13], -1
                                        ; implicit-def: $vgpr26_vgpr27
	s_and_saveexec_b64 s[14:15], s[0:1]
	s_xor_b64 s[0:1], exec, s[14:15]
	s_cbranch_execz .LBB24_348
; %bb.347:
	v_lshl_add_u32 v26, v30, 3, v34
	ds_read_b64 v[26:27], v26 offset:8
.LBB24_348:
	s_or_saveexec_b64 s[0:1], s[0:1]
	s_waitcnt lgkmcnt(0)
	v_pk_mov_b32 v[28:29], v[24:25], v[24:25] op_sel:[0,1]
	s_xor_b64 exec, exec, s[0:1]
	s_cbranch_execz .LBB24_350
; %bb.349:
	v_lshl_add_u32 v26, v31, 3, v34
	ds_read_b64 v[28:29], v26 offset:8
	v_pk_mov_b32 v[26:27], v[22:23], v[22:23] op_sel:[0,1]
.LBB24_350:
	s_or_b64 exec, exec, s[0:1]
	v_add_u32_e32 v33, 1, v31
	v_cndmask_b32_e64 v39, v31, v33, s[12:13]
	v_add_u32_e32 v32, 1, v30
	v_cmp_ge_i32_e32 vcc, v39, v38
                                        ; implicit-def: $sgpr14_sgpr15
	s_and_saveexec_b64 s[0:1], vcc
	s_xor_b64 s[0:1], exec, s[0:1]
; %bb.351:
	s_mov_b64 s[14:15], 0
; %bb.352:
	s_or_saveexec_b64 s[16:17], s[0:1]
	v_cndmask_b32_e64 v40, v32, v30, s[12:13]
	s_xor_b64 exec, exec, s[16:17]
	s_cbranch_execz .LBB24_358
; %bb.353:
	v_cmp_lt_i32_e32 vcc, v40, v37
	s_waitcnt lgkmcnt(0)
	v_cmp_nlt_f32_e64 s[0:1], v28, v26
	s_and_b64 s[20:21], vcc, s[0:1]
	s_mov_b64 s[18:19], -1
	s_and_saveexec_b64 s[0:1], s[20:21]
	s_cbranch_execz .LBB24_357
; %bb.354:
	v_cmp_eq_f32_e32 vcc, v28, v26
	s_mov_b64 s[18:19], 0
	s_and_saveexec_b64 s[20:21], vcc
; %bb.355:
	v_cmp_lt_f32_e32 vcc, v29, v27
	s_and_b64 s[18:19], vcc, exec
; %bb.356:
	s_or_b64 exec, exec, s[20:21]
	s_orn2_b64 s[18:19], s[18:19], exec
.LBB24_357:
	s_or_b64 exec, exec, s[0:1]
	s_andn2_b64 s[0:1], s[14:15], exec
	s_and_b64 s[14:15], s[18:19], exec
	s_or_b64 s[14:15], s[0:1], s[14:15]
.LBB24_358:
	s_or_b64 exec, exec, s[16:17]
	s_xor_b64 s[0:1], s[14:15], -1
                                        ; implicit-def: $vgpr30_vgpr31
	s_and_saveexec_b64 s[16:17], s[0:1]
	s_xor_b64 s[0:1], exec, s[16:17]
	s_cbranch_execz .LBB24_360
; %bb.359:
	v_lshl_add_u32 v30, v40, 3, v34
	ds_read_b64 v[30:31], v30 offset:8
.LBB24_360:
	s_or_saveexec_b64 s[0:1], s[0:1]
	s_waitcnt lgkmcnt(0)
	v_pk_mov_b32 v[32:33], v[28:29], v[28:29] op_sel:[0,1]
	s_xor_b64 exec, exec, s[0:1]
	s_cbranch_execz .LBB24_362
; %bb.361:
	v_lshl_add_u32 v30, v39, 3, v34
	ds_read_b64 v[32:33], v30 offset:8
	v_pk_mov_b32 v[30:31], v[26:27], v[26:27] op_sel:[0,1]
.LBB24_362:
	s_or_b64 exec, exec, s[0:1]
	v_add_u32_e32 v41, 1, v39
	v_cndmask_b32_e64 v39, v39, v41, s[14:15]
	v_cmp_lt_i32_e32 vcc, v39, v38
	s_mov_b64 s[0:1], 0
	s_and_saveexec_b64 s[16:17], vcc
	s_cbranch_execz .LBB24_368
; %bb.363:
	v_add_u32_e32 v38, 1, v40
	v_cndmask_b32_e64 v38, v38, v40, s[14:15]
	v_cmp_lt_i32_e32 vcc, v38, v37
	s_waitcnt lgkmcnt(0)
	v_cmp_nlt_f32_e64 s[0:1], v32, v30
	s_and_b64 s[20:21], vcc, s[0:1]
	s_mov_b64 s[18:19], -1
	s_and_saveexec_b64 s[0:1], s[20:21]
	s_cbranch_execz .LBB24_367
; %bb.364:
	v_cmp_eq_f32_e32 vcc, v32, v30
	s_mov_b64 s[18:19], 0
	s_and_saveexec_b64 s[20:21], vcc
; %bb.365:
	v_cmp_lt_f32_e32 vcc, v33, v31
	s_and_b64 s[18:19], vcc, exec
; %bb.366:
	s_or_b64 exec, exec, s[20:21]
	s_orn2_b64 s[18:19], s[18:19], exec
.LBB24_367:
	s_or_b64 exec, exec, s[0:1]
	s_and_b64 s[0:1], s[18:19], exec
.LBB24_368:
	s_or_b64 exec, exec, s[16:17]
	v_cndmask_b32_e64 v10, v10, v12, s[6:7]
	v_cndmask_b32_e64 v7, v7, v9, s[4:5]
	;; [unrolled: 1-line block ×5, first 2 shown]
	s_waitcnt lgkmcnt(0)
	v_cndmask_b32_e64 v5, v31, v33, s[0:1]
	v_cndmask_b32_e64 v4, v30, v32, s[0:1]
	s_movk_i32 s0, 0x80
	v_cndmask_b32_e64 v26, v26, v28, s[14:15]
	v_cndmask_b32_e64 v27, v27, v29, s[14:15]
	;; [unrolled: 1-line block ×9, first 2 shown]
	; wave barrier
	ds_write2_b64 v36, v[2:3], v[6:7] offset1:1
	ds_write2_b64 v36, v[10:11], v[14:15] offset0:2 offset1:3
	ds_write2_b64 v36, v[18:19], v[22:23] offset0:4 offset1:5
	;; [unrolled: 1-line block ×3, first 2 shown]
	v_sub_u32_e64 v10, v35, s0 clamp
	v_min_i32_e32 v2, 0x80, v35
	v_cmp_lt_u32_e32 vcc, v10, v2
	; wave barrier
	s_and_saveexec_b64 s[0:1], vcc
	s_cbranch_execz .LBB24_376
; %bb.369:
	v_add_u32_e32 v3, 0x400, v36
	s_mov_b64 s[2:3], 0
                                        ; implicit-def: $sgpr4_sgpr5
	s_branch .LBB24_372
.LBB24_370:                             ;   in Loop: Header=BB24_372 Depth=1
	s_or_b64 exec, exec, s[10:11]
	s_andn2_b64 s[4:5], s[4:5], exec
	s_and_b64 s[8:9], s[8:9], exec
	s_or_b64 s[4:5], s[4:5], s[8:9]
.LBB24_371:                             ;   in Loop: Header=BB24_372 Depth=1
	s_or_b64 exec, exec, s[6:7]
	v_add_u32_e32 v5, 1, v4
	v_cndmask_b32_e64 v2, v2, v4, s[4:5]
	v_cndmask_b32_e64 v10, v5, v10, s[4:5]
	v_cmp_ge_i32_e32 vcc, v10, v2
	s_or_b64 s[2:3], vcc, s[2:3]
	s_andn2_b64 exec, exec, s[2:3]
	s_cbranch_execz .LBB24_375
.LBB24_372:                             ; =>This Inner Loop Header: Depth=1
	v_sub_u32_e32 v4, v2, v10
	v_lshrrev_b32_e32 v5, 31, v4
	v_add_u32_e32 v4, v4, v5
	v_ashrrev_i32_e32 v4, 1, v4
	v_add_u32_e32 v4, v4, v10
	v_lshl_add_u32 v5, v4, 3, v34
	v_not_b32_e32 v6, v4
	v_lshl_add_u32 v6, v6, 3, v3
	ds_read_b32 v7, v5
	ds_read_b32 v8, v6
	s_or_b64 s[4:5], s[4:5], exec
	s_waitcnt lgkmcnt(0)
	v_cmp_nlt_f32_e32 vcc, v8, v7
	s_and_saveexec_b64 s[6:7], vcc
	s_cbranch_execz .LBB24_371
; %bb.373:                              ;   in Loop: Header=BB24_372 Depth=1
	v_cmp_eq_f32_e32 vcc, v8, v7
	s_mov_b64 s[8:9], 0
	s_and_saveexec_b64 s[10:11], vcc
	s_cbranch_execz .LBB24_370
; %bb.374:                              ;   in Loop: Header=BB24_372 Depth=1
	ds_read_b32 v6, v6 offset:4
	ds_read_b32 v5, v5 offset:4
	s_waitcnt lgkmcnt(0)
	v_cmp_lt_f32_e32 vcc, v6, v5
	s_and_b64 s[8:9], vcc, exec
	s_branch .LBB24_370
.LBB24_375:
	s_or_b64 exec, exec, s[2:3]
.LBB24_376:
	s_or_b64 exec, exec, s[0:1]
	v_sub_u32_e32 v6, v35, v10
	v_lshl_add_u32 v8, v10, 3, v34
	v_lshl_add_u32 v12, v6, 3, v34
	ds_read_b64 v[2:3], v8
	ds_read_b64 v[4:5], v12 offset:1024
	v_add_u32_e32 v11, 0x80, v6
	s_movk_i32 s1, 0x100
	s_movk_i32 s0, 0x80
	v_cmp_gt_i32_e32 vcc, s1, v11
	s_mov_b64 s[2:3], 0
	s_and_saveexec_b64 s[4:5], vcc
	s_cbranch_execz .LBB24_382
; %bb.377:
	v_cmp_gt_i32_e32 vcc, s0, v10
	s_waitcnt lgkmcnt(0)
	v_cmp_nlt_f32_e64 s[0:1], v4, v2
	s_and_b64 s[6:7], vcc, s[0:1]
	s_mov_b64 s[2:3], -1
	s_and_saveexec_b64 s[0:1], s[6:7]
	s_cbranch_execz .LBB24_381
; %bb.378:
	v_cmp_eq_f32_e32 vcc, v4, v2
	s_mov_b64 s[2:3], 0
	s_and_saveexec_b64 s[6:7], vcc
; %bb.379:
	v_cmp_lt_f32_e32 vcc, v5, v3
	s_and_b64 s[2:3], vcc, exec
; %bb.380:
	s_or_b64 exec, exec, s[6:7]
	s_orn2_b64 s[2:3], s[2:3], exec
.LBB24_381:
	s_or_b64 exec, exec, s[0:1]
	s_and_b64 s[2:3], s[2:3], exec
.LBB24_382:
	s_or_b64 exec, exec, s[4:5]
	s_xor_b64 s[0:1], s[2:3], -1
                                        ; implicit-def: $vgpr6_vgpr7
	s_and_saveexec_b64 s[4:5], s[0:1]
	s_xor_b64 s[0:1], exec, s[4:5]
	s_cbranch_execz .LBB24_384
; %bb.383:
	ds_read_b64 v[6:7], v8 offset:8
                                        ; implicit-def: $vgpr12
.LBB24_384:
	s_or_saveexec_b64 s[0:1], s[0:1]
	s_waitcnt lgkmcnt(0)
	v_pk_mov_b32 v[8:9], v[4:5], v[4:5] op_sel:[0,1]
	s_xor_b64 exec, exec, s[0:1]
	s_cbranch_execz .LBB24_386
; %bb.385:
	ds_read_b64 v[8:9], v12 offset:1032
	v_pk_mov_b32 v[6:7], v[2:3], v[2:3] op_sel:[0,1]
.LBB24_386:
	s_or_b64 exec, exec, s[0:1]
	v_add_u32_e32 v12, 1, v11
	v_add_u32_e32 v13, 1, v10
	v_cndmask_b32_e64 v14, v11, v12, s[2:3]
	s_movk_i32 s0, 0x100
	v_cndmask_b32_e64 v15, v13, v10, s[2:3]
	v_cmp_gt_i32_e32 vcc, s0, v14
	s_mov_b64 s[4:5], 0
	s_and_saveexec_b64 s[6:7], vcc
	s_cbranch_execz .LBB24_392
; %bb.387:
	s_movk_i32 s0, 0x80
	v_cmp_gt_i32_e32 vcc, s0, v15
	s_waitcnt lgkmcnt(0)
	v_cmp_nlt_f32_e64 s[0:1], v8, v6
	s_and_b64 s[8:9], vcc, s[0:1]
	s_mov_b64 s[4:5], -1
	s_and_saveexec_b64 s[0:1], s[8:9]
	s_cbranch_execz .LBB24_391
; %bb.388:
	v_cmp_eq_f32_e32 vcc, v8, v6
	s_mov_b64 s[4:5], 0
	s_and_saveexec_b64 s[8:9], vcc
; %bb.389:
	v_cmp_lt_f32_e32 vcc, v9, v7
	s_and_b64 s[4:5], vcc, exec
; %bb.390:
	s_or_b64 exec, exec, s[8:9]
	s_orn2_b64 s[4:5], s[4:5], exec
.LBB24_391:
	s_or_b64 exec, exec, s[0:1]
	s_and_b64 s[4:5], s[4:5], exec
.LBB24_392:
	s_or_b64 exec, exec, s[6:7]
	s_xor_b64 s[0:1], s[4:5], -1
                                        ; implicit-def: $vgpr10_vgpr11
	s_and_saveexec_b64 s[6:7], s[0:1]
	s_xor_b64 s[0:1], exec, s[6:7]
	s_cbranch_execz .LBB24_394
; %bb.393:
	v_lshl_add_u32 v10, v15, 3, v34
	ds_read_b64 v[10:11], v10 offset:8
.LBB24_394:
	s_or_saveexec_b64 s[0:1], s[0:1]
	s_waitcnt lgkmcnt(0)
	v_pk_mov_b32 v[12:13], v[8:9], v[8:9] op_sel:[0,1]
	s_xor_b64 exec, exec, s[0:1]
	s_cbranch_execz .LBB24_396
; %bb.395:
	v_lshl_add_u32 v10, v14, 3, v34
	ds_read_b64 v[12:13], v10 offset:8
	v_pk_mov_b32 v[10:11], v[6:7], v[6:7] op_sel:[0,1]
.LBB24_396:
	s_or_b64 exec, exec, s[0:1]
	v_add_u32_e32 v16, 1, v14
	v_add_u32_e32 v17, 1, v15
	v_cndmask_b32_e64 v18, v14, v16, s[4:5]
	s_movk_i32 s0, 0x100
	v_cndmask_b32_e64 v19, v17, v15, s[4:5]
	v_cmp_gt_i32_e32 vcc, s0, v18
	s_mov_b64 s[6:7], 0
	s_and_saveexec_b64 s[8:9], vcc
	s_cbranch_execz .LBB24_402
; %bb.397:
	s_movk_i32 s0, 0x80
	v_cmp_gt_i32_e32 vcc, s0, v19
	s_waitcnt lgkmcnt(0)
	v_cmp_nlt_f32_e64 s[0:1], v12, v10
	s_and_b64 s[10:11], vcc, s[0:1]
	s_mov_b64 s[6:7], -1
	s_and_saveexec_b64 s[0:1], s[10:11]
	s_cbranch_execz .LBB24_401
; %bb.398:
	v_cmp_eq_f32_e32 vcc, v12, v10
	s_mov_b64 s[6:7], 0
	s_and_saveexec_b64 s[10:11], vcc
; %bb.399:
	v_cmp_lt_f32_e32 vcc, v13, v11
	s_and_b64 s[6:7], vcc, exec
; %bb.400:
	s_or_b64 exec, exec, s[10:11]
	s_orn2_b64 s[6:7], s[6:7], exec
.LBB24_401:
	s_or_b64 exec, exec, s[0:1]
	s_and_b64 s[6:7], s[6:7], exec
.LBB24_402:
	s_or_b64 exec, exec, s[8:9]
	s_xor_b64 s[0:1], s[6:7], -1
                                        ; implicit-def: $vgpr14_vgpr15
	s_and_saveexec_b64 s[8:9], s[0:1]
	s_xor_b64 s[0:1], exec, s[8:9]
	s_cbranch_execz .LBB24_404
; %bb.403:
	v_lshl_add_u32 v14, v19, 3, v34
	ds_read_b64 v[14:15], v14 offset:8
.LBB24_404:
	s_or_saveexec_b64 s[0:1], s[0:1]
	s_waitcnt lgkmcnt(0)
	v_pk_mov_b32 v[16:17], v[12:13], v[12:13] op_sel:[0,1]
	s_xor_b64 exec, exec, s[0:1]
	s_cbranch_execz .LBB24_406
; %bb.405:
	v_lshl_add_u32 v14, v18, 3, v34
	ds_read_b64 v[16:17], v14 offset:8
	v_pk_mov_b32 v[14:15], v[10:11], v[10:11] op_sel:[0,1]
.LBB24_406:
	s_or_b64 exec, exec, s[0:1]
	v_add_u32_e32 v20, 1, v18
	v_add_u32_e32 v21, 1, v19
	v_cndmask_b32_e64 v22, v18, v20, s[6:7]
	s_movk_i32 s0, 0x100
	v_cndmask_b32_e64 v23, v21, v19, s[6:7]
	v_cmp_gt_i32_e32 vcc, s0, v22
	s_mov_b64 s[8:9], 0
	s_and_saveexec_b64 s[10:11], vcc
	s_cbranch_execz .LBB24_412
; %bb.407:
	s_movk_i32 s0, 0x80
	v_cmp_gt_i32_e32 vcc, s0, v23
	s_waitcnt lgkmcnt(0)
	v_cmp_nlt_f32_e64 s[0:1], v16, v14
	s_and_b64 s[12:13], vcc, s[0:1]
	s_mov_b64 s[8:9], -1
	s_and_saveexec_b64 s[0:1], s[12:13]
	s_cbranch_execz .LBB24_411
; %bb.408:
	v_cmp_eq_f32_e32 vcc, v16, v14
	s_mov_b64 s[8:9], 0
	s_and_saveexec_b64 s[12:13], vcc
; %bb.409:
	v_cmp_lt_f32_e32 vcc, v17, v15
	s_and_b64 s[8:9], vcc, exec
; %bb.410:
	s_or_b64 exec, exec, s[12:13]
	s_orn2_b64 s[8:9], s[8:9], exec
.LBB24_411:
	s_or_b64 exec, exec, s[0:1]
	s_and_b64 s[8:9], s[8:9], exec
.LBB24_412:
	s_or_b64 exec, exec, s[10:11]
	s_xor_b64 s[0:1], s[8:9], -1
                                        ; implicit-def: $vgpr18_vgpr19
	s_and_saveexec_b64 s[10:11], s[0:1]
	s_xor_b64 s[0:1], exec, s[10:11]
	s_cbranch_execz .LBB24_414
; %bb.413:
	v_lshl_add_u32 v18, v23, 3, v34
	ds_read_b64 v[18:19], v18 offset:8
.LBB24_414:
	s_or_saveexec_b64 s[0:1], s[0:1]
	s_waitcnt lgkmcnt(0)
	v_pk_mov_b32 v[20:21], v[16:17], v[16:17] op_sel:[0,1]
	s_xor_b64 exec, exec, s[0:1]
	s_cbranch_execz .LBB24_416
; %bb.415:
	v_lshl_add_u32 v18, v22, 3, v34
	ds_read_b64 v[20:21], v18 offset:8
	v_pk_mov_b32 v[18:19], v[14:15], v[14:15] op_sel:[0,1]
.LBB24_416:
	s_or_b64 exec, exec, s[0:1]
	v_add_u32_e32 v24, 1, v22
	v_add_u32_e32 v25, 1, v23
	v_cndmask_b32_e64 v26, v22, v24, s[8:9]
	s_movk_i32 s0, 0x100
	v_cndmask_b32_e64 v27, v25, v23, s[8:9]
	v_cmp_gt_i32_e32 vcc, s0, v26
	s_mov_b64 s[10:11], 0
	s_and_saveexec_b64 s[12:13], vcc
	s_cbranch_execz .LBB24_422
; %bb.417:
	s_movk_i32 s0, 0x80
	v_cmp_gt_i32_e32 vcc, s0, v27
	s_waitcnt lgkmcnt(0)
	v_cmp_nlt_f32_e64 s[0:1], v20, v18
	s_and_b64 s[14:15], vcc, s[0:1]
	s_mov_b64 s[10:11], -1
	s_and_saveexec_b64 s[0:1], s[14:15]
	s_cbranch_execz .LBB24_421
; %bb.418:
	v_cmp_eq_f32_e32 vcc, v20, v18
	s_mov_b64 s[10:11], 0
	s_and_saveexec_b64 s[14:15], vcc
; %bb.419:
	v_cmp_lt_f32_e32 vcc, v21, v19
	s_and_b64 s[10:11], vcc, exec
; %bb.420:
	s_or_b64 exec, exec, s[14:15]
	s_orn2_b64 s[10:11], s[10:11], exec
.LBB24_421:
	s_or_b64 exec, exec, s[0:1]
	s_and_b64 s[10:11], s[10:11], exec
.LBB24_422:
	s_or_b64 exec, exec, s[12:13]
	s_xor_b64 s[0:1], s[10:11], -1
                                        ; implicit-def: $vgpr22_vgpr23
	s_and_saveexec_b64 s[12:13], s[0:1]
	s_xor_b64 s[0:1], exec, s[12:13]
	s_cbranch_execz .LBB24_424
; %bb.423:
	v_lshl_add_u32 v22, v27, 3, v34
	ds_read_b64 v[22:23], v22 offset:8
.LBB24_424:
	s_or_saveexec_b64 s[0:1], s[0:1]
	s_waitcnt lgkmcnt(0)
	v_pk_mov_b32 v[24:25], v[20:21], v[20:21] op_sel:[0,1]
	s_xor_b64 exec, exec, s[0:1]
	s_cbranch_execz .LBB24_426
; %bb.425:
	v_lshl_add_u32 v22, v26, 3, v34
	ds_read_b64 v[24:25], v22 offset:8
	v_pk_mov_b32 v[22:23], v[18:19], v[18:19] op_sel:[0,1]
.LBB24_426:
	s_or_b64 exec, exec, s[0:1]
	v_add_u32_e32 v28, 1, v26
	v_add_u32_e32 v29, 1, v27
	v_cndmask_b32_e64 v30, v26, v28, s[10:11]
	s_movk_i32 s0, 0x100
	v_cndmask_b32_e64 v31, v29, v27, s[10:11]
	v_cmp_gt_i32_e32 vcc, s0, v30
	s_mov_b64 s[12:13], 0
	s_and_saveexec_b64 s[14:15], vcc
	s_cbranch_execz .LBB24_432
; %bb.427:
	s_movk_i32 s0, 0x80
	v_cmp_gt_i32_e32 vcc, s0, v31
	s_waitcnt lgkmcnt(0)
	v_cmp_nlt_f32_e64 s[0:1], v24, v22
	s_and_b64 s[16:17], vcc, s[0:1]
	s_mov_b64 s[12:13], -1
	s_and_saveexec_b64 s[0:1], s[16:17]
	s_cbranch_execz .LBB24_431
; %bb.428:
	v_cmp_eq_f32_e32 vcc, v24, v22
	s_mov_b64 s[12:13], 0
	s_and_saveexec_b64 s[16:17], vcc
; %bb.429:
	v_cmp_lt_f32_e32 vcc, v25, v23
	s_and_b64 s[12:13], vcc, exec
; %bb.430:
	s_or_b64 exec, exec, s[16:17]
	s_orn2_b64 s[12:13], s[12:13], exec
.LBB24_431:
	s_or_b64 exec, exec, s[0:1]
	s_and_b64 s[12:13], s[12:13], exec
.LBB24_432:
	s_or_b64 exec, exec, s[14:15]
	s_xor_b64 s[0:1], s[12:13], -1
                                        ; implicit-def: $vgpr26_vgpr27
	s_and_saveexec_b64 s[14:15], s[0:1]
	s_xor_b64 s[0:1], exec, s[14:15]
	s_cbranch_execz .LBB24_434
; %bb.433:
	v_lshl_add_u32 v26, v31, 3, v34
	ds_read_b64 v[26:27], v26 offset:8
.LBB24_434:
	s_or_saveexec_b64 s[0:1], s[0:1]
	s_waitcnt lgkmcnt(0)
	v_pk_mov_b32 v[28:29], v[24:25], v[24:25] op_sel:[0,1]
	s_xor_b64 exec, exec, s[0:1]
	s_cbranch_execz .LBB24_436
; %bb.435:
	v_lshl_add_u32 v26, v30, 3, v34
	ds_read_b64 v[28:29], v26 offset:8
	v_pk_mov_b32 v[26:27], v[22:23], v[22:23] op_sel:[0,1]
.LBB24_436:
	s_or_b64 exec, exec, s[0:1]
	v_add_u32_e32 v32, 1, v30
	v_add_u32_e32 v33, 1, v31
	v_cndmask_b32_e64 v36, v30, v32, s[12:13]
	s_movk_i32 s0, 0x100
	v_cndmask_b32_e64 v35, v33, v31, s[12:13]
	v_cmp_gt_i32_e32 vcc, s0, v36
	s_mov_b64 s[14:15], 0
	s_and_saveexec_b64 s[16:17], vcc
	s_cbranch_execz .LBB24_442
; %bb.437:
	s_movk_i32 s0, 0x80
	v_cmp_gt_i32_e32 vcc, s0, v35
	s_waitcnt lgkmcnt(0)
	v_cmp_nlt_f32_e64 s[0:1], v28, v26
	s_and_b64 s[18:19], vcc, s[0:1]
	s_mov_b64 s[14:15], -1
	s_and_saveexec_b64 s[0:1], s[18:19]
	s_cbranch_execz .LBB24_441
; %bb.438:
	v_cmp_eq_f32_e32 vcc, v28, v26
	s_mov_b64 s[14:15], 0
	s_and_saveexec_b64 s[18:19], vcc
; %bb.439:
	v_cmp_lt_f32_e32 vcc, v29, v27
	s_and_b64 s[14:15], vcc, exec
; %bb.440:
	s_or_b64 exec, exec, s[18:19]
	s_orn2_b64 s[14:15], s[14:15], exec
.LBB24_441:
	s_or_b64 exec, exec, s[0:1]
	s_and_b64 s[14:15], s[14:15], exec
.LBB24_442:
	s_or_b64 exec, exec, s[16:17]
	s_xor_b64 s[0:1], s[14:15], -1
                                        ; implicit-def: $vgpr30_vgpr31
	s_and_saveexec_b64 s[16:17], s[0:1]
	s_xor_b64 s[0:1], exec, s[16:17]
	s_cbranch_execz .LBB24_444
; %bb.443:
	v_lshl_add_u32 v30, v35, 3, v34
	ds_read_b64 v[30:31], v30 offset:8
                                        ; implicit-def: $vgpr34
.LBB24_444:
	s_or_saveexec_b64 s[0:1], s[0:1]
	s_waitcnt lgkmcnt(0)
	v_pk_mov_b32 v[32:33], v[28:29], v[28:29] op_sel:[0,1]
	s_xor_b64 exec, exec, s[0:1]
	s_cbranch_execz .LBB24_446
; %bb.445:
	v_lshl_add_u32 v30, v36, 3, v34
	ds_read_b64 v[32:33], v30 offset:8
	v_pk_mov_b32 v[30:31], v[26:27], v[26:27] op_sel:[0,1]
.LBB24_446:
	s_or_b64 exec, exec, s[0:1]
	v_add_u32_e32 v34, 1, v36
	v_cndmask_b32_e64 v34, v36, v34, s[14:15]
	s_movk_i32 s0, 0x100
	v_cmp_gt_i32_e32 vcc, s0, v34
	s_mov_b64 s[0:1], 0
	s_and_saveexec_b64 s[16:17], vcc
	s_cbranch_execz .LBB24_452
; %bb.447:
	v_add_u32_e32 v34, 1, v35
	v_cndmask_b32_e64 v34, v34, v35, s[14:15]
	s_movk_i32 s0, 0x80
	v_cmp_gt_i32_e32 vcc, s0, v34
	s_waitcnt lgkmcnt(0)
	v_cmp_nlt_f32_e64 s[0:1], v32, v30
	s_and_b64 s[20:21], vcc, s[0:1]
	s_mov_b64 s[18:19], -1
	s_and_saveexec_b64 s[0:1], s[20:21]
	s_cbranch_execz .LBB24_451
; %bb.448:
	v_cmp_eq_f32_e32 vcc, v32, v30
	s_mov_b64 s[18:19], 0
	s_and_saveexec_b64 s[20:21], vcc
; %bb.449:
	v_cmp_lt_f32_e32 vcc, v33, v31
	s_and_b64 s[18:19], vcc, exec
; %bb.450:
	s_or_b64 exec, exec, s[20:21]
	s_orn2_b64 s[18:19], s[18:19], exec
.LBB24_451:
	s_or_b64 exec, exec, s[0:1]
	s_and_b64 s[0:1], s[18:19], exec
.LBB24_452:
	s_or_b64 exec, exec, s[16:17]
	v_cndmask_b32_e64 v7, v7, v9, s[4:5]
	v_cndmask_b32_e64 v6, v6, v8, s[4:5]
	;; [unrolled: 1-line block ×14, first 2 shown]
	s_waitcnt lgkmcnt(0)
	v_cndmask_b32_e64 v29, v31, v33, s[0:1]
	v_cndmask_b32_e64 v28, v30, v32, s[0:1]
	global_store_dwordx4 v[0:1], v[4:7], off
	global_store_dwordx4 v[0:1], v[12:15], off offset:16
	global_store_dwordx4 v[0:1], v[20:23], off offset:32
	;; [unrolled: 1-line block ×3, first 2 shown]
	s_endpgm
	.section	.rodata,"a",@progbits
	.p2align	6, 0x0
	.amdhsa_kernel _Z14sort_keys_fullILj256ELj32ELj8ELb0EN10test_utils16custom_test_typeIfEENS0_4lessEEvPT3_T4_
		.amdhsa_group_segment_fixed_size 16448
		.amdhsa_private_segment_fixed_size 0
		.amdhsa_kernarg_size 12
		.amdhsa_user_sgpr_count 6
		.amdhsa_user_sgpr_private_segment_buffer 1
		.amdhsa_user_sgpr_dispatch_ptr 0
		.amdhsa_user_sgpr_queue_ptr 0
		.amdhsa_user_sgpr_kernarg_segment_ptr 1
		.amdhsa_user_sgpr_dispatch_id 0
		.amdhsa_user_sgpr_flat_scratch_init 0
		.amdhsa_user_sgpr_kernarg_preload_length 0
		.amdhsa_user_sgpr_kernarg_preload_offset 0
		.amdhsa_user_sgpr_private_segment_size 0
		.amdhsa_uses_dynamic_stack 0
		.amdhsa_system_sgpr_private_segment_wavefront_offset 0
		.amdhsa_system_sgpr_workgroup_id_x 1
		.amdhsa_system_sgpr_workgroup_id_y 0
		.amdhsa_system_sgpr_workgroup_id_z 0
		.amdhsa_system_sgpr_workgroup_info 0
		.amdhsa_system_vgpr_workitem_id 0
		.amdhsa_next_free_vgpr 43
		.amdhsa_next_free_sgpr 23
		.amdhsa_accum_offset 44
		.amdhsa_reserve_vcc 1
		.amdhsa_reserve_flat_scratch 0
		.amdhsa_float_round_mode_32 0
		.amdhsa_float_round_mode_16_64 0
		.amdhsa_float_denorm_mode_32 3
		.amdhsa_float_denorm_mode_16_64 3
		.amdhsa_dx10_clamp 1
		.amdhsa_ieee_mode 1
		.amdhsa_fp16_overflow 0
		.amdhsa_tg_split 0
		.amdhsa_exception_fp_ieee_invalid_op 0
		.amdhsa_exception_fp_denorm_src 0
		.amdhsa_exception_fp_ieee_div_zero 0
		.amdhsa_exception_fp_ieee_overflow 0
		.amdhsa_exception_fp_ieee_underflow 0
		.amdhsa_exception_fp_ieee_inexact 0
		.amdhsa_exception_int_div_zero 0
	.end_amdhsa_kernel
	.section	.text._Z14sort_keys_fullILj256ELj32ELj8ELb0EN10test_utils16custom_test_typeIfEENS0_4lessEEvPT3_T4_,"axG",@progbits,_Z14sort_keys_fullILj256ELj32ELj8ELb0EN10test_utils16custom_test_typeIfEENS0_4lessEEvPT3_T4_,comdat
.Lfunc_end24:
	.size	_Z14sort_keys_fullILj256ELj32ELj8ELb0EN10test_utils16custom_test_typeIfEENS0_4lessEEvPT3_T4_, .Lfunc_end24-_Z14sort_keys_fullILj256ELj32ELj8ELb0EN10test_utils16custom_test_typeIfEENS0_4lessEEvPT3_T4_
                                        ; -- End function
	.section	.AMDGPU.csdata,"",@progbits
; Kernel info:
; codeLenInByte = 11532
; NumSgprs: 27
; NumVgprs: 43
; NumAgprs: 0
; TotalNumVgprs: 43
; ScratchSize: 0
; MemoryBound: 0
; FloatMode: 240
; IeeeMode: 1
; LDSByteSize: 16448 bytes/workgroup (compile time only)
; SGPRBlocks: 3
; VGPRBlocks: 5
; NumSGPRsForWavesPerEU: 27
; NumVGPRsForWavesPerEU: 43
; AccumOffset: 44
; Occupancy: 3
; WaveLimiterHint : 0
; COMPUTE_PGM_RSRC2:SCRATCH_EN: 0
; COMPUTE_PGM_RSRC2:USER_SGPR: 6
; COMPUTE_PGM_RSRC2:TRAP_HANDLER: 0
; COMPUTE_PGM_RSRC2:TGID_X_EN: 1
; COMPUTE_PGM_RSRC2:TGID_Y_EN: 0
; COMPUTE_PGM_RSRC2:TGID_Z_EN: 0
; COMPUTE_PGM_RSRC2:TIDIG_COMP_CNT: 0
; COMPUTE_PGM_RSRC3_GFX90A:ACCUM_OFFSET: 10
; COMPUTE_PGM_RSRC3_GFX90A:TG_SPLIT: 0
	.section	.text._Z14sort_keys_fullILj256ELj32ELj4ELb0EN10test_utils16custom_test_typeIfEENS0_4lessEEvPT3_T4_,"axG",@progbits,_Z14sort_keys_fullILj256ELj32ELj4ELb0EN10test_utils16custom_test_typeIfEENS0_4lessEEvPT3_T4_,comdat
	.protected	_Z14sort_keys_fullILj256ELj32ELj4ELb0EN10test_utils16custom_test_typeIfEENS0_4lessEEvPT3_T4_ ; -- Begin function _Z14sort_keys_fullILj256ELj32ELj4ELb0EN10test_utils16custom_test_typeIfEENS0_4lessEEvPT3_T4_
	.globl	_Z14sort_keys_fullILj256ELj32ELj4ELb0EN10test_utils16custom_test_typeIfEENS0_4lessEEvPT3_T4_
	.p2align	8
	.type	_Z14sort_keys_fullILj256ELj32ELj4ELb0EN10test_utils16custom_test_typeIfEENS0_4lessEEvPT3_T4_,@function
_Z14sort_keys_fullILj256ELj32ELj4ELb0EN10test_utils16custom_test_typeIfEENS0_4lessEEvPT3_T4_: ; @_Z14sort_keys_fullILj256ELj32ELj4ELb0EN10test_utils16custom_test_typeIfEENS0_4lessEEvPT3_T4_
; %bb.0:
	s_load_dwordx2 s[0:1], s[4:5], 0x0
	s_lshl_b32 s2, s6, 10
	s_mov_b32 s3, 0
	s_lshl_b64 s[2:3], s[2:3], 3
	v_lshlrev_b32_e32 v1, 5, v0
	s_waitcnt lgkmcnt(0)
	s_add_u32 s0, s0, s2
	s_addc_u32 s1, s1, s3
	global_load_dwordx4 v[12:15], v1, s[0:1]
	global_load_dwordx4 v[24:27], v1, s[0:1] offset:16
	v_mbcnt_lo_u32_b32 v3, -1, 0
	v_lshrrev_b32_e32 v2, 5, v0
	v_mbcnt_hi_u32_b32 v0, -1, v3
	v_lshlrev_b32_e32 v21, 2, v0
	v_and_b32_e32 v10, 0x78, v21
	v_and_b32_e32 v19, 0x7c, v21
	v_or_b32_e32 v22, 4, v10
	v_add_u32_e32 v23, 8, v10
	s_movk_i32 s2, 0x408
	v_and_b32_e32 v6, 4, v21
	v_lshlrev_b32_e32 v0, 3, v19
	v_sub_u32_e32 v5, v23, v22
	v_mad_u32_u24 v20, v2, s2, v0
	v_sub_u32_e32 v0, v22, v10
	v_sub_u32_e32 v7, v6, v5
	v_cmp_ge_i32_e32 vcc, v6, v5
	v_lshlrev_b32_e32 v3, 3, v10
	v_min_i32_e32 v4, v6, v0
	v_cndmask_b32_e32 v11, 0, v7, vcc
	v_mov_b32_e32 v5, s1
	v_add_co_u32_e32 v0, vcc, s0, v1
	v_mad_u32_u24 v3, v2, s2, v3
	v_addc_co_u32_e32 v1, vcc, 0, v5, vcc
	; wave barrier
	s_waitcnt vmcnt(1)
	v_cmp_neq_f32_e64 s[0:1], v14, v12
	v_cmp_nlt_f32_e64 s[2:3], v15, v13
	s_waitcnt vmcnt(0)
	v_cmp_neq_f32_e64 s[6:7], v26, v24
	v_cmp_nlt_f32_e64 s[8:9], v27, v25
	v_cmp_nlt_f32_e32 vcc, v14, v12
	v_cmp_nlt_f32_e64 s[4:5], v26, v24
	s_or_b64 s[0:1], s[0:1], s[2:3]
	s_or_b64 s[2:3], s[6:7], s[8:9]
	s_and_b64 vcc, vcc, s[0:1]
	s_and_b64 s[0:1], s[4:5], s[2:3]
	v_cndmask_b32_e64 v7, v27, v25, s[0:1]
	v_cndmask_b32_e32 v16, v14, v12, vcc
	v_cndmask_b32_e32 v8, v13, v15, vcc
	;; [unrolled: 1-line block ×3, first 2 shown]
	v_cndmask_b32_e64 v12, v26, v24, s[0:1]
	v_cndmask_b32_e32 v5, v15, v13, vcc
	v_cndmask_b32_e64 v14, v25, v27, s[0:1]
	v_cndmask_b32_e64 v15, v24, v26, s[0:1]
	v_cmp_neq_f32_e64 s[0:1], v12, v9
	v_cmp_nlt_f32_e64 s[2:3], v7, v8
	v_cmp_nlt_f32_e32 vcc, v12, v9
	s_or_b64 s[0:1], s[0:1], s[2:3]
	s_and_b64 vcc, vcc, s[0:1]
	v_cndmask_b32_e32 v17, v7, v8, vcc
	v_cndmask_b32_e32 v18, v12, v9, vcc
	;; [unrolled: 1-line block ×4, first 2 shown]
	v_cmp_nlt_f32_e32 vcc, v17, v5
	v_cmp_neq_f32_e64 s[2:3], v18, v16
	v_cmp_neq_f32_e64 s[6:7], v15, v24
	v_cmp_nlt_f32_e64 s[8:9], v14, v7
	v_cmp_nlt_f32_e64 s[0:1], v18, v16
	;; [unrolled: 1-line block ×3, first 2 shown]
	s_or_b64 s[2:3], s[2:3], vcc
	s_or_b64 s[6:7], s[6:7], s[8:9]
	s_and_b64 vcc, s[0:1], s[2:3]
	s_and_b64 s[0:1], s[4:5], s[6:7]
	v_cndmask_b32_e32 v9, v17, v5, vcc
	v_cndmask_b32_e64 v13, v7, v14, s[0:1]
	v_cndmask_b32_e32 v8, v18, v16, vcc
	v_cndmask_b32_e32 v5, v5, v17, vcc
	;; [unrolled: 1-line block ×3, first 2 shown]
	v_cndmask_b32_e64 v7, v14, v7, s[0:1]
	v_cndmask_b32_e64 v18, v15, v24, s[0:1]
	;; [unrolled: 1-line block ×3, first 2 shown]
	v_cmp_neq_f32_e64 s[0:1], v18, v16
	v_cmp_nlt_f32_e64 s[2:3], v7, v5
	v_cmp_nlt_f32_e32 vcc, v18, v16
	s_or_b64 s[0:1], s[0:1], s[2:3]
	s_and_b64 vcc, vcc, s[0:1]
	v_cndmask_b32_e32 v15, v7, v5, vcc
	v_cndmask_b32_e32 v14, v18, v16, vcc
	;; [unrolled: 1-line block ×4, first 2 shown]
	v_cmp_lt_i32_e32 vcc, v11, v4
	ds_write2_b64 v20, v[8:9], v[14:15] offset1:1
	ds_write2_b64 v20, v[16:17], v[12:13] offset0:2 offset1:3
	; wave barrier
	s_and_saveexec_b64 s[0:1], vcc
	s_cbranch_execz .LBB25_8
; %bb.1:
	v_lshlrev_b32_e32 v5, 3, v6
	v_add3_u32 v5, v3, v5, 32
	s_mov_b64 s[2:3], 0
                                        ; implicit-def: $sgpr4_sgpr5
	s_branch .LBB25_4
.LBB25_2:                               ;   in Loop: Header=BB25_4 Depth=1
	s_or_b64 exec, exec, s[10:11]
	s_andn2_b64 s[4:5], s[4:5], exec
	s_and_b64 s[8:9], s[8:9], exec
	s_or_b64 s[4:5], s[4:5], s[8:9]
.LBB25_3:                               ;   in Loop: Header=BB25_4 Depth=1
	s_or_b64 exec, exec, s[6:7]
	v_add_u32_e32 v8, 1, v7
	v_cndmask_b32_e64 v4, v4, v7, s[4:5]
	v_cndmask_b32_e64 v11, v8, v11, s[4:5]
	v_cmp_ge_i32_e32 vcc, v11, v4
	s_or_b64 s[2:3], vcc, s[2:3]
	s_andn2_b64 exec, exec, s[2:3]
	s_cbranch_execz .LBB25_7
.LBB25_4:                               ; =>This Inner Loop Header: Depth=1
	v_sub_u32_e32 v7, v4, v11
	v_lshrrev_b32_e32 v8, 31, v7
	v_add_u32_e32 v7, v7, v8
	v_ashrrev_i32_e32 v7, 1, v7
	v_add_u32_e32 v7, v7, v11
	v_lshl_add_u32 v8, v7, 3, v3
	v_not_b32_e32 v9, v7
	v_lshl_add_u32 v9, v9, 3, v5
	ds_read_b32 v12, v8
	ds_read_b32 v13, v9
	s_or_b64 s[4:5], s[4:5], exec
	s_waitcnt lgkmcnt(0)
	v_cmp_nlt_f32_e32 vcc, v13, v12
	s_and_saveexec_b64 s[6:7], vcc
	s_cbranch_execz .LBB25_3
; %bb.5:                                ;   in Loop: Header=BB25_4 Depth=1
	v_cmp_eq_f32_e32 vcc, v13, v12
	s_mov_b64 s[8:9], 0
	s_and_saveexec_b64 s[10:11], vcc
	s_cbranch_execz .LBB25_2
; %bb.6:                                ;   in Loop: Header=BB25_4 Depth=1
	ds_read_b32 v9, v9 offset:4
	ds_read_b32 v8, v8 offset:4
	s_waitcnt lgkmcnt(0)
	v_cmp_lt_f32_e32 vcc, v9, v8
	s_and_b64 s[8:9], vcc, exec
	s_branch .LBB25_2
.LBB25_7:
	s_or_b64 exec, exec, s[2:3]
.LBB25_8:
	s_or_b64 exec, exec, s[0:1]
	v_mul_u32_u24_e32 v18, 0x408, v2
	v_add_u32_e32 v2, v10, v6
	v_lshl_add_u32 v8, v11, 3, v3
	v_sub_u32_e32 v2, v2, v11
	v_lshl_add_u32 v13, v2, 3, v18
	ds_read_b64 v[2:3], v8
	ds_read_b64 v[4:5], v13 offset:32
	v_add_u32_e32 v6, v22, v6
	v_sub_u32_e32 v12, v6, v11
	v_cmp_le_i32_e32 vcc, v23, v12
                                        ; implicit-def: $sgpr2_sgpr3
	s_and_saveexec_b64 s[0:1], vcc
	s_xor_b64 s[0:1], exec, s[0:1]
; %bb.9:
	s_mov_b64 s[2:3], 0
; %bb.10:
	s_andn2_saveexec_b64 s[4:5], s[0:1]
	s_cbranch_execz .LBB25_16
; %bb.11:
	v_cmp_gt_i32_e32 vcc, 4, v11
	s_waitcnt lgkmcnt(0)
	v_cmp_nlt_f32_e64 s[0:1], v4, v2
	s_and_b64 s[8:9], vcc, s[0:1]
	s_mov_b64 s[6:7], -1
	s_and_saveexec_b64 s[0:1], s[8:9]
	s_cbranch_execz .LBB25_15
; %bb.12:
	v_cmp_eq_f32_e32 vcc, v4, v2
	s_mov_b64 s[6:7], 0
	s_and_saveexec_b64 s[8:9], vcc
; %bb.13:
	v_cmp_lt_f32_e32 vcc, v5, v3
	s_and_b64 s[6:7], vcc, exec
; %bb.14:
	s_or_b64 exec, exec, s[8:9]
	s_orn2_b64 s[6:7], s[6:7], exec
.LBB25_15:
	s_or_b64 exec, exec, s[0:1]
	s_andn2_b64 s[0:1], s[2:3], exec
	s_and_b64 s[2:3], s[6:7], exec
	s_or_b64 s[2:3], s[0:1], s[2:3]
.LBB25_16:
	s_or_b64 exec, exec, s[4:5]
	s_xor_b64 s[0:1], s[2:3], -1
                                        ; implicit-def: $vgpr6_vgpr7
	s_and_saveexec_b64 s[4:5], s[0:1]
	s_xor_b64 s[0:1], exec, s[4:5]
	s_cbranch_execz .LBB25_18
; %bb.17:
	ds_read_b64 v[6:7], v8 offset:8
                                        ; implicit-def: $vgpr13
.LBB25_18:
	s_or_saveexec_b64 s[0:1], s[0:1]
	s_waitcnt lgkmcnt(0)
	v_pk_mov_b32 v[8:9], v[4:5], v[4:5] op_sel:[0,1]
	s_xor_b64 exec, exec, s[0:1]
	s_cbranch_execz .LBB25_20
; %bb.19:
	ds_read_b64 v[8:9], v13 offset:40
	v_pk_mov_b32 v[6:7], v[2:3], v[2:3] op_sel:[0,1]
.LBB25_20:
	s_or_b64 exec, exec, s[0:1]
	v_add_u32_e32 v10, v11, v10
	v_add_u32_e32 v11, 1, v12
	;; [unrolled: 1-line block ×3, first 2 shown]
	v_cndmask_b32_e64 v15, v12, v11, s[2:3]
	v_cndmask_b32_e64 v14, v13, v10, s[2:3]
	v_cmp_lt_i32_e32 vcc, v15, v23
	s_mov_b64 s[4:5], 0
	s_and_saveexec_b64 s[6:7], vcc
	s_cbranch_execz .LBB25_26
; %bb.21:
	v_cmp_lt_i32_e32 vcc, v14, v22
	s_waitcnt lgkmcnt(0)
	v_cmp_nlt_f32_e64 s[0:1], v8, v6
	s_and_b64 s[8:9], vcc, s[0:1]
	s_mov_b64 s[4:5], -1
	s_and_saveexec_b64 s[0:1], s[8:9]
	s_cbranch_execz .LBB25_25
; %bb.22:
	v_cmp_eq_f32_e32 vcc, v8, v6
	s_mov_b64 s[4:5], 0
	s_and_saveexec_b64 s[8:9], vcc
; %bb.23:
	v_cmp_lt_f32_e32 vcc, v9, v7
	s_and_b64 s[4:5], vcc, exec
; %bb.24:
	s_or_b64 exec, exec, s[8:9]
	s_orn2_b64 s[4:5], s[4:5], exec
.LBB25_25:
	s_or_b64 exec, exec, s[0:1]
	s_and_b64 s[4:5], s[4:5], exec
.LBB25_26:
	s_or_b64 exec, exec, s[6:7]
	s_xor_b64 s[0:1], s[4:5], -1
                                        ; implicit-def: $vgpr10_vgpr11
	s_and_saveexec_b64 s[6:7], s[0:1]
	s_xor_b64 s[0:1], exec, s[6:7]
	s_cbranch_execz .LBB25_28
; %bb.27:
	v_lshl_add_u32 v10, v14, 3, v18
	ds_read_b64 v[10:11], v10 offset:8
.LBB25_28:
	s_or_saveexec_b64 s[0:1], s[0:1]
	s_waitcnt lgkmcnt(0)
	v_pk_mov_b32 v[12:13], v[8:9], v[8:9] op_sel:[0,1]
	s_xor_b64 exec, exec, s[0:1]
	s_cbranch_execz .LBB25_30
; %bb.29:
	v_lshl_add_u32 v10, v15, 3, v18
	ds_read_b64 v[12:13], v10 offset:8
	v_pk_mov_b32 v[10:11], v[6:7], v[6:7] op_sel:[0,1]
.LBB25_30:
	s_or_b64 exec, exec, s[0:1]
	v_add_u32_e32 v17, 1, v15
	v_cndmask_b32_e64 v24, v15, v17, s[4:5]
	v_add_u32_e32 v16, 1, v14
	v_cmp_ge_i32_e32 vcc, v24, v23
                                        ; implicit-def: $sgpr6_sgpr7
	s_and_saveexec_b64 s[0:1], vcc
	s_xor_b64 s[0:1], exec, s[0:1]
; %bb.31:
	s_mov_b64 s[6:7], 0
; %bb.32:
	s_or_saveexec_b64 s[8:9], s[0:1]
	v_cndmask_b32_e64 v25, v16, v14, s[4:5]
	s_xor_b64 exec, exec, s[8:9]
	s_cbranch_execz .LBB25_38
; %bb.33:
	v_cmp_lt_i32_e32 vcc, v25, v22
	s_waitcnt lgkmcnt(0)
	v_cmp_nlt_f32_e64 s[0:1], v12, v10
	s_and_b64 s[12:13], vcc, s[0:1]
	s_mov_b64 s[10:11], -1
	s_and_saveexec_b64 s[0:1], s[12:13]
	s_cbranch_execz .LBB25_37
; %bb.34:
	v_cmp_eq_f32_e32 vcc, v12, v10
	s_mov_b64 s[10:11], 0
	s_and_saveexec_b64 s[12:13], vcc
; %bb.35:
	v_cmp_lt_f32_e32 vcc, v13, v11
	s_and_b64 s[10:11], vcc, exec
; %bb.36:
	s_or_b64 exec, exec, s[12:13]
	s_orn2_b64 s[10:11], s[10:11], exec
.LBB25_37:
	s_or_b64 exec, exec, s[0:1]
	s_andn2_b64 s[0:1], s[6:7], exec
	s_and_b64 s[6:7], s[10:11], exec
	s_or_b64 s[6:7], s[0:1], s[6:7]
.LBB25_38:
	s_or_b64 exec, exec, s[8:9]
	s_xor_b64 s[0:1], s[6:7], -1
                                        ; implicit-def: $vgpr14_vgpr15
	s_and_saveexec_b64 s[8:9], s[0:1]
	s_xor_b64 s[0:1], exec, s[8:9]
	s_cbranch_execz .LBB25_40
; %bb.39:
	v_lshl_add_u32 v14, v25, 3, v18
	ds_read_b64 v[14:15], v14 offset:8
.LBB25_40:
	s_or_saveexec_b64 s[0:1], s[0:1]
	s_waitcnt lgkmcnt(0)
	v_pk_mov_b32 v[16:17], v[12:13], v[12:13] op_sel:[0,1]
	s_xor_b64 exec, exec, s[0:1]
	s_cbranch_execz .LBB25_42
; %bb.41:
	v_lshl_add_u32 v14, v24, 3, v18
	ds_read_b64 v[16:17], v14 offset:8
	v_pk_mov_b32 v[14:15], v[10:11], v[10:11] op_sel:[0,1]
.LBB25_42:
	s_or_b64 exec, exec, s[0:1]
	v_add_u32_e32 v26, 1, v24
	v_cndmask_b32_e64 v24, v24, v26, s[6:7]
	v_cmp_lt_i32_e32 vcc, v24, v23
	s_mov_b64 s[0:1], 0
	s_and_saveexec_b64 s[8:9], vcc
	s_cbranch_execz .LBB25_48
; %bb.43:
	v_add_u32_e32 v23, 1, v25
	v_cndmask_b32_e64 v23, v23, v25, s[6:7]
	v_cmp_lt_i32_e32 vcc, v23, v22
	s_waitcnt lgkmcnt(0)
	v_cmp_nlt_f32_e64 s[0:1], v16, v14
	s_and_b64 s[12:13], vcc, s[0:1]
	s_mov_b64 s[10:11], -1
	s_and_saveexec_b64 s[0:1], s[12:13]
	s_cbranch_execz .LBB25_47
; %bb.44:
	v_cmp_eq_f32_e32 vcc, v16, v14
	s_mov_b64 s[10:11], 0
	s_and_saveexec_b64 s[12:13], vcc
; %bb.45:
	v_cmp_lt_f32_e32 vcc, v17, v15
	s_and_b64 s[10:11], vcc, exec
; %bb.46:
	s_or_b64 exec, exec, s[12:13]
	s_orn2_b64 s[10:11], s[10:11], exec
.LBB25_47:
	s_or_b64 exec, exec, s[0:1]
	s_and_b64 s[0:1], s[10:11], exec
.LBB25_48:
	s_or_b64 exec, exec, s[8:9]
	v_cndmask_b32_e64 v10, v10, v12, s[6:7]
	v_cndmask_b32_e64 v7, v7, v9, s[4:5]
	;; [unrolled: 1-line block ×6, first 2 shown]
	s_waitcnt lgkmcnt(0)
	v_cndmask_b32_e64 v5, v15, v17, s[0:1]
	v_cndmask_b32_e64 v4, v14, v16, s[0:1]
	; wave barrier
	ds_write2_b64 v20, v[2:3], v[6:7] offset1:1
	ds_write2_b64 v20, v[10:11], v[4:5] offset0:2 offset1:3
	v_and_b32_e32 v10, 0x70, v21
	v_or_b32_e32 v22, 8, v10
	v_add_u32_e32 v23, 16, v10
	v_and_b32_e32 v6, 12, v21
	v_sub_u32_e32 v4, v23, v22
	v_sub_u32_e32 v3, v22, v10
	;; [unrolled: 1-line block ×3, first 2 shown]
	v_cmp_ge_i32_e32 vcc, v6, v4
	v_cndmask_b32_e32 v11, 0, v5, vcc
	v_min_i32_e32 v3, v6, v3
	v_lshl_add_u32 v2, v10, 3, v18
	v_cmp_lt_i32_e32 vcc, v11, v3
	; wave barrier
	s_and_saveexec_b64 s[0:1], vcc
	s_cbranch_execz .LBB25_56
; %bb.49:
	v_lshlrev_b32_e32 v4, 3, v6
	v_add3_u32 v4, v2, v4, 64
	s_mov_b64 s[2:3], 0
                                        ; implicit-def: $sgpr4_sgpr5
	s_branch .LBB25_52
.LBB25_50:                              ;   in Loop: Header=BB25_52 Depth=1
	s_or_b64 exec, exec, s[10:11]
	s_andn2_b64 s[4:5], s[4:5], exec
	s_and_b64 s[8:9], s[8:9], exec
	s_or_b64 s[4:5], s[4:5], s[8:9]
.LBB25_51:                              ;   in Loop: Header=BB25_52 Depth=1
	s_or_b64 exec, exec, s[6:7]
	v_add_u32_e32 v7, 1, v5
	v_cndmask_b32_e64 v3, v3, v5, s[4:5]
	v_cndmask_b32_e64 v11, v7, v11, s[4:5]
	v_cmp_ge_i32_e32 vcc, v11, v3
	s_or_b64 s[2:3], vcc, s[2:3]
	s_andn2_b64 exec, exec, s[2:3]
	s_cbranch_execz .LBB25_55
.LBB25_52:                              ; =>This Inner Loop Header: Depth=1
	v_sub_u32_e32 v5, v3, v11
	v_lshrrev_b32_e32 v7, 31, v5
	v_add_u32_e32 v5, v5, v7
	v_ashrrev_i32_e32 v5, 1, v5
	v_add_u32_e32 v5, v5, v11
	v_lshl_add_u32 v7, v5, 3, v2
	v_not_b32_e32 v8, v5
	v_lshl_add_u32 v8, v8, 3, v4
	ds_read_b32 v9, v7
	ds_read_b32 v12, v8
	s_or_b64 s[4:5], s[4:5], exec
	s_waitcnt lgkmcnt(0)
	v_cmp_nlt_f32_e32 vcc, v12, v9
	s_and_saveexec_b64 s[6:7], vcc
	s_cbranch_execz .LBB25_51
; %bb.53:                               ;   in Loop: Header=BB25_52 Depth=1
	v_cmp_eq_f32_e32 vcc, v12, v9
	s_mov_b64 s[8:9], 0
	s_and_saveexec_b64 s[10:11], vcc
	s_cbranch_execz .LBB25_50
; %bb.54:                               ;   in Loop: Header=BB25_52 Depth=1
	ds_read_b32 v8, v8 offset:4
	ds_read_b32 v7, v7 offset:4
	s_waitcnt lgkmcnt(0)
	v_cmp_lt_f32_e32 vcc, v8, v7
	s_and_b64 s[8:9], vcc, exec
	s_branch .LBB25_50
.LBB25_55:
	s_or_b64 exec, exec, s[2:3]
.LBB25_56:
	s_or_b64 exec, exec, s[0:1]
	v_lshl_add_u32 v8, v11, 3, v2
	v_add_u32_e32 v2, v10, v6
	v_sub_u32_e32 v2, v2, v11
	v_lshl_add_u32 v13, v2, 3, v18
	ds_read_b64 v[2:3], v8
	ds_read_b64 v[4:5], v13 offset:64
	v_add_u32_e32 v6, v22, v6
	v_sub_u32_e32 v12, v6, v11
	v_cmp_le_i32_e32 vcc, v23, v12
                                        ; implicit-def: $sgpr2_sgpr3
	s_and_saveexec_b64 s[0:1], vcc
	s_xor_b64 s[0:1], exec, s[0:1]
; %bb.57:
	s_mov_b64 s[2:3], 0
; %bb.58:
	s_andn2_saveexec_b64 s[4:5], s[0:1]
	s_cbranch_execz .LBB25_64
; %bb.59:
	v_cmp_gt_i32_e32 vcc, 8, v11
	s_waitcnt lgkmcnt(0)
	v_cmp_nlt_f32_e64 s[0:1], v4, v2
	s_and_b64 s[8:9], vcc, s[0:1]
	s_mov_b64 s[6:7], -1
	s_and_saveexec_b64 s[0:1], s[8:9]
	s_cbranch_execz .LBB25_63
; %bb.60:
	v_cmp_eq_f32_e32 vcc, v4, v2
	s_mov_b64 s[6:7], 0
	s_and_saveexec_b64 s[8:9], vcc
; %bb.61:
	v_cmp_lt_f32_e32 vcc, v5, v3
	s_and_b64 s[6:7], vcc, exec
; %bb.62:
	s_or_b64 exec, exec, s[8:9]
	s_orn2_b64 s[6:7], s[6:7], exec
.LBB25_63:
	s_or_b64 exec, exec, s[0:1]
	s_andn2_b64 s[0:1], s[2:3], exec
	s_and_b64 s[2:3], s[6:7], exec
	s_or_b64 s[2:3], s[0:1], s[2:3]
.LBB25_64:
	s_or_b64 exec, exec, s[4:5]
	s_xor_b64 s[0:1], s[2:3], -1
                                        ; implicit-def: $vgpr6_vgpr7
	s_and_saveexec_b64 s[4:5], s[0:1]
	s_xor_b64 s[0:1], exec, s[4:5]
	s_cbranch_execz .LBB25_66
; %bb.65:
	ds_read_b64 v[6:7], v8 offset:8
                                        ; implicit-def: $vgpr13
.LBB25_66:
	s_or_saveexec_b64 s[0:1], s[0:1]
	s_waitcnt lgkmcnt(0)
	v_pk_mov_b32 v[8:9], v[4:5], v[4:5] op_sel:[0,1]
	s_xor_b64 exec, exec, s[0:1]
	s_cbranch_execz .LBB25_68
; %bb.67:
	ds_read_b64 v[8:9], v13 offset:72
	v_pk_mov_b32 v[6:7], v[2:3], v[2:3] op_sel:[0,1]
.LBB25_68:
	s_or_b64 exec, exec, s[0:1]
	v_add_u32_e32 v10, v11, v10
	v_add_u32_e32 v11, 1, v12
	;; [unrolled: 1-line block ×3, first 2 shown]
	v_cndmask_b32_e64 v15, v12, v11, s[2:3]
	v_cndmask_b32_e64 v14, v13, v10, s[2:3]
	v_cmp_lt_i32_e32 vcc, v15, v23
	s_mov_b64 s[4:5], 0
	s_and_saveexec_b64 s[6:7], vcc
	s_cbranch_execz .LBB25_74
; %bb.69:
	v_cmp_lt_i32_e32 vcc, v14, v22
	s_waitcnt lgkmcnt(0)
	v_cmp_nlt_f32_e64 s[0:1], v8, v6
	s_and_b64 s[8:9], vcc, s[0:1]
	s_mov_b64 s[4:5], -1
	s_and_saveexec_b64 s[0:1], s[8:9]
	s_cbranch_execz .LBB25_73
; %bb.70:
	v_cmp_eq_f32_e32 vcc, v8, v6
	s_mov_b64 s[4:5], 0
	s_and_saveexec_b64 s[8:9], vcc
; %bb.71:
	v_cmp_lt_f32_e32 vcc, v9, v7
	s_and_b64 s[4:5], vcc, exec
; %bb.72:
	s_or_b64 exec, exec, s[8:9]
	s_orn2_b64 s[4:5], s[4:5], exec
.LBB25_73:
	s_or_b64 exec, exec, s[0:1]
	s_and_b64 s[4:5], s[4:5], exec
.LBB25_74:
	s_or_b64 exec, exec, s[6:7]
	s_xor_b64 s[0:1], s[4:5], -1
                                        ; implicit-def: $vgpr10_vgpr11
	s_and_saveexec_b64 s[6:7], s[0:1]
	s_xor_b64 s[0:1], exec, s[6:7]
	s_cbranch_execz .LBB25_76
; %bb.75:
	v_lshl_add_u32 v10, v14, 3, v18
	ds_read_b64 v[10:11], v10 offset:8
.LBB25_76:
	s_or_saveexec_b64 s[0:1], s[0:1]
	s_waitcnt lgkmcnt(0)
	v_pk_mov_b32 v[12:13], v[8:9], v[8:9] op_sel:[0,1]
	s_xor_b64 exec, exec, s[0:1]
	s_cbranch_execz .LBB25_78
; %bb.77:
	v_lshl_add_u32 v10, v15, 3, v18
	ds_read_b64 v[12:13], v10 offset:8
	v_pk_mov_b32 v[10:11], v[6:7], v[6:7] op_sel:[0,1]
.LBB25_78:
	s_or_b64 exec, exec, s[0:1]
	v_add_u32_e32 v17, 1, v15
	v_cndmask_b32_e64 v24, v15, v17, s[4:5]
	v_add_u32_e32 v16, 1, v14
	v_cmp_ge_i32_e32 vcc, v24, v23
                                        ; implicit-def: $sgpr6_sgpr7
	s_and_saveexec_b64 s[0:1], vcc
	s_xor_b64 s[0:1], exec, s[0:1]
; %bb.79:
	s_mov_b64 s[6:7], 0
; %bb.80:
	s_or_saveexec_b64 s[8:9], s[0:1]
	v_cndmask_b32_e64 v25, v16, v14, s[4:5]
	s_xor_b64 exec, exec, s[8:9]
	s_cbranch_execz .LBB25_86
; %bb.81:
	v_cmp_lt_i32_e32 vcc, v25, v22
	s_waitcnt lgkmcnt(0)
	v_cmp_nlt_f32_e64 s[0:1], v12, v10
	s_and_b64 s[12:13], vcc, s[0:1]
	s_mov_b64 s[10:11], -1
	s_and_saveexec_b64 s[0:1], s[12:13]
	s_cbranch_execz .LBB25_85
; %bb.82:
	v_cmp_eq_f32_e32 vcc, v12, v10
	s_mov_b64 s[10:11], 0
	s_and_saveexec_b64 s[12:13], vcc
; %bb.83:
	v_cmp_lt_f32_e32 vcc, v13, v11
	s_and_b64 s[10:11], vcc, exec
; %bb.84:
	s_or_b64 exec, exec, s[12:13]
	s_orn2_b64 s[10:11], s[10:11], exec
.LBB25_85:
	s_or_b64 exec, exec, s[0:1]
	s_andn2_b64 s[0:1], s[6:7], exec
	s_and_b64 s[6:7], s[10:11], exec
	s_or_b64 s[6:7], s[0:1], s[6:7]
.LBB25_86:
	s_or_b64 exec, exec, s[8:9]
	s_xor_b64 s[0:1], s[6:7], -1
                                        ; implicit-def: $vgpr14_vgpr15
	s_and_saveexec_b64 s[8:9], s[0:1]
	s_xor_b64 s[0:1], exec, s[8:9]
	s_cbranch_execz .LBB25_88
; %bb.87:
	v_lshl_add_u32 v14, v25, 3, v18
	ds_read_b64 v[14:15], v14 offset:8
.LBB25_88:
	s_or_saveexec_b64 s[0:1], s[0:1]
	s_waitcnt lgkmcnt(0)
	v_pk_mov_b32 v[16:17], v[12:13], v[12:13] op_sel:[0,1]
	s_xor_b64 exec, exec, s[0:1]
	s_cbranch_execz .LBB25_90
; %bb.89:
	v_lshl_add_u32 v14, v24, 3, v18
	ds_read_b64 v[16:17], v14 offset:8
	v_pk_mov_b32 v[14:15], v[10:11], v[10:11] op_sel:[0,1]
.LBB25_90:
	s_or_b64 exec, exec, s[0:1]
	v_add_u32_e32 v26, 1, v24
	v_cndmask_b32_e64 v24, v24, v26, s[6:7]
	v_cmp_lt_i32_e32 vcc, v24, v23
	s_mov_b64 s[0:1], 0
	s_and_saveexec_b64 s[8:9], vcc
	s_cbranch_execz .LBB25_96
; %bb.91:
	v_add_u32_e32 v23, 1, v25
	v_cndmask_b32_e64 v23, v23, v25, s[6:7]
	v_cmp_lt_i32_e32 vcc, v23, v22
	s_waitcnt lgkmcnt(0)
	v_cmp_nlt_f32_e64 s[0:1], v16, v14
	s_and_b64 s[12:13], vcc, s[0:1]
	s_mov_b64 s[10:11], -1
	s_and_saveexec_b64 s[0:1], s[12:13]
	s_cbranch_execz .LBB25_95
; %bb.92:
	v_cmp_eq_f32_e32 vcc, v16, v14
	s_mov_b64 s[10:11], 0
	s_and_saveexec_b64 s[12:13], vcc
; %bb.93:
	v_cmp_lt_f32_e32 vcc, v17, v15
	s_and_b64 s[10:11], vcc, exec
; %bb.94:
	s_or_b64 exec, exec, s[12:13]
	s_orn2_b64 s[10:11], s[10:11], exec
.LBB25_95:
	s_or_b64 exec, exec, s[0:1]
	s_and_b64 s[0:1], s[10:11], exec
.LBB25_96:
	s_or_b64 exec, exec, s[8:9]
	v_cndmask_b32_e64 v10, v10, v12, s[6:7]
	v_cndmask_b32_e64 v7, v7, v9, s[4:5]
	;; [unrolled: 1-line block ×6, first 2 shown]
	s_waitcnt lgkmcnt(0)
	v_cndmask_b32_e64 v5, v15, v17, s[0:1]
	v_cndmask_b32_e64 v4, v14, v16, s[0:1]
	; wave barrier
	ds_write2_b64 v20, v[2:3], v[6:7] offset1:1
	ds_write2_b64 v20, v[10:11], v[4:5] offset0:2 offset1:3
	v_and_b32_e32 v10, 0x60, v21
	v_or_b32_e32 v22, 16, v10
	v_add_u32_e32 v23, 32, v10
	v_and_b32_e32 v6, 28, v21
	v_sub_u32_e32 v4, v23, v22
	v_sub_u32_e32 v3, v22, v10
	;; [unrolled: 1-line block ×3, first 2 shown]
	v_cmp_ge_i32_e32 vcc, v6, v4
	v_cndmask_b32_e32 v11, 0, v5, vcc
	v_min_i32_e32 v3, v6, v3
	v_lshl_add_u32 v2, v10, 3, v18
	v_cmp_lt_i32_e32 vcc, v11, v3
	; wave barrier
	s_and_saveexec_b64 s[0:1], vcc
	s_cbranch_execz .LBB25_104
; %bb.97:
	v_lshlrev_b32_e32 v4, 3, v6
	s_movk_i32 s2, 0x80
	v_add3_u32 v4, v2, v4, s2
	s_mov_b64 s[2:3], 0
                                        ; implicit-def: $sgpr4_sgpr5
	s_branch .LBB25_100
.LBB25_98:                              ;   in Loop: Header=BB25_100 Depth=1
	s_or_b64 exec, exec, s[10:11]
	s_andn2_b64 s[4:5], s[4:5], exec
	s_and_b64 s[8:9], s[8:9], exec
	s_or_b64 s[4:5], s[4:5], s[8:9]
.LBB25_99:                              ;   in Loop: Header=BB25_100 Depth=1
	s_or_b64 exec, exec, s[6:7]
	v_add_u32_e32 v7, 1, v5
	v_cndmask_b32_e64 v3, v3, v5, s[4:5]
	v_cndmask_b32_e64 v11, v7, v11, s[4:5]
	v_cmp_ge_i32_e32 vcc, v11, v3
	s_or_b64 s[2:3], vcc, s[2:3]
	s_andn2_b64 exec, exec, s[2:3]
	s_cbranch_execz .LBB25_103
.LBB25_100:                             ; =>This Inner Loop Header: Depth=1
	v_sub_u32_e32 v5, v3, v11
	v_lshrrev_b32_e32 v7, 31, v5
	v_add_u32_e32 v5, v5, v7
	v_ashrrev_i32_e32 v5, 1, v5
	v_add_u32_e32 v5, v5, v11
	v_lshl_add_u32 v7, v5, 3, v2
	v_not_b32_e32 v8, v5
	v_lshl_add_u32 v8, v8, 3, v4
	ds_read_b32 v9, v7
	ds_read_b32 v12, v8
	s_or_b64 s[4:5], s[4:5], exec
	s_waitcnt lgkmcnt(0)
	v_cmp_nlt_f32_e32 vcc, v12, v9
	s_and_saveexec_b64 s[6:7], vcc
	s_cbranch_execz .LBB25_99
; %bb.101:                              ;   in Loop: Header=BB25_100 Depth=1
	v_cmp_eq_f32_e32 vcc, v12, v9
	s_mov_b64 s[8:9], 0
	s_and_saveexec_b64 s[10:11], vcc
	s_cbranch_execz .LBB25_98
; %bb.102:                              ;   in Loop: Header=BB25_100 Depth=1
	ds_read_b32 v8, v8 offset:4
	ds_read_b32 v7, v7 offset:4
	s_waitcnt lgkmcnt(0)
	v_cmp_lt_f32_e32 vcc, v8, v7
	s_and_b64 s[8:9], vcc, exec
	s_branch .LBB25_98
.LBB25_103:
	s_or_b64 exec, exec, s[2:3]
.LBB25_104:
	s_or_b64 exec, exec, s[0:1]
	v_lshl_add_u32 v8, v11, 3, v2
	v_add_u32_e32 v2, v10, v6
	v_sub_u32_e32 v2, v2, v11
	v_lshl_add_u32 v13, v2, 3, v18
	ds_read_b64 v[2:3], v8
	ds_read_b64 v[4:5], v13 offset:128
	v_add_u32_e32 v6, v22, v6
	v_sub_u32_e32 v12, v6, v11
	v_cmp_le_i32_e32 vcc, v23, v12
                                        ; implicit-def: $sgpr2_sgpr3
	s_and_saveexec_b64 s[0:1], vcc
	s_xor_b64 s[0:1], exec, s[0:1]
; %bb.105:
	s_mov_b64 s[2:3], 0
; %bb.106:
	s_andn2_saveexec_b64 s[4:5], s[0:1]
	s_cbranch_execz .LBB25_112
; %bb.107:
	v_cmp_gt_i32_e32 vcc, 16, v11
	s_waitcnt lgkmcnt(0)
	v_cmp_nlt_f32_e64 s[0:1], v4, v2
	s_and_b64 s[8:9], vcc, s[0:1]
	s_mov_b64 s[6:7], -1
	s_and_saveexec_b64 s[0:1], s[8:9]
	s_cbranch_execz .LBB25_111
; %bb.108:
	v_cmp_eq_f32_e32 vcc, v4, v2
	s_mov_b64 s[6:7], 0
	s_and_saveexec_b64 s[8:9], vcc
; %bb.109:
	v_cmp_lt_f32_e32 vcc, v5, v3
	s_and_b64 s[6:7], vcc, exec
; %bb.110:
	s_or_b64 exec, exec, s[8:9]
	s_orn2_b64 s[6:7], s[6:7], exec
.LBB25_111:
	s_or_b64 exec, exec, s[0:1]
	s_andn2_b64 s[0:1], s[2:3], exec
	s_and_b64 s[2:3], s[6:7], exec
	s_or_b64 s[2:3], s[0:1], s[2:3]
.LBB25_112:
	s_or_b64 exec, exec, s[4:5]
	s_xor_b64 s[0:1], s[2:3], -1
                                        ; implicit-def: $vgpr6_vgpr7
	s_and_saveexec_b64 s[4:5], s[0:1]
	s_xor_b64 s[0:1], exec, s[4:5]
	s_cbranch_execz .LBB25_114
; %bb.113:
	ds_read_b64 v[6:7], v8 offset:8
                                        ; implicit-def: $vgpr13
.LBB25_114:
	s_or_saveexec_b64 s[0:1], s[0:1]
	s_waitcnt lgkmcnt(0)
	v_pk_mov_b32 v[8:9], v[4:5], v[4:5] op_sel:[0,1]
	s_xor_b64 exec, exec, s[0:1]
	s_cbranch_execz .LBB25_116
; %bb.115:
	ds_read_b64 v[8:9], v13 offset:136
	v_pk_mov_b32 v[6:7], v[2:3], v[2:3] op_sel:[0,1]
.LBB25_116:
	s_or_b64 exec, exec, s[0:1]
	v_add_u32_e32 v10, v11, v10
	v_add_u32_e32 v11, 1, v12
	;; [unrolled: 1-line block ×3, first 2 shown]
	v_cndmask_b32_e64 v15, v12, v11, s[2:3]
	v_cndmask_b32_e64 v14, v13, v10, s[2:3]
	v_cmp_lt_i32_e32 vcc, v15, v23
	s_mov_b64 s[4:5], 0
	s_and_saveexec_b64 s[6:7], vcc
	s_cbranch_execz .LBB25_122
; %bb.117:
	v_cmp_lt_i32_e32 vcc, v14, v22
	s_waitcnt lgkmcnt(0)
	v_cmp_nlt_f32_e64 s[0:1], v8, v6
	s_and_b64 s[8:9], vcc, s[0:1]
	s_mov_b64 s[4:5], -1
	s_and_saveexec_b64 s[0:1], s[8:9]
	s_cbranch_execz .LBB25_121
; %bb.118:
	v_cmp_eq_f32_e32 vcc, v8, v6
	s_mov_b64 s[4:5], 0
	s_and_saveexec_b64 s[8:9], vcc
; %bb.119:
	v_cmp_lt_f32_e32 vcc, v9, v7
	s_and_b64 s[4:5], vcc, exec
; %bb.120:
	s_or_b64 exec, exec, s[8:9]
	s_orn2_b64 s[4:5], s[4:5], exec
.LBB25_121:
	s_or_b64 exec, exec, s[0:1]
	s_and_b64 s[4:5], s[4:5], exec
.LBB25_122:
	s_or_b64 exec, exec, s[6:7]
	s_xor_b64 s[0:1], s[4:5], -1
                                        ; implicit-def: $vgpr10_vgpr11
	s_and_saveexec_b64 s[6:7], s[0:1]
	s_xor_b64 s[0:1], exec, s[6:7]
	s_cbranch_execz .LBB25_124
; %bb.123:
	v_lshl_add_u32 v10, v14, 3, v18
	ds_read_b64 v[10:11], v10 offset:8
.LBB25_124:
	s_or_saveexec_b64 s[0:1], s[0:1]
	s_waitcnt lgkmcnt(0)
	v_pk_mov_b32 v[12:13], v[8:9], v[8:9] op_sel:[0,1]
	s_xor_b64 exec, exec, s[0:1]
	s_cbranch_execz .LBB25_126
; %bb.125:
	v_lshl_add_u32 v10, v15, 3, v18
	ds_read_b64 v[12:13], v10 offset:8
	v_pk_mov_b32 v[10:11], v[6:7], v[6:7] op_sel:[0,1]
.LBB25_126:
	s_or_b64 exec, exec, s[0:1]
	v_add_u32_e32 v17, 1, v15
	v_cndmask_b32_e64 v24, v15, v17, s[4:5]
	v_add_u32_e32 v16, 1, v14
	v_cmp_ge_i32_e32 vcc, v24, v23
                                        ; implicit-def: $sgpr6_sgpr7
	s_and_saveexec_b64 s[0:1], vcc
	s_xor_b64 s[0:1], exec, s[0:1]
; %bb.127:
	s_mov_b64 s[6:7], 0
; %bb.128:
	s_or_saveexec_b64 s[8:9], s[0:1]
	v_cndmask_b32_e64 v25, v16, v14, s[4:5]
	s_xor_b64 exec, exec, s[8:9]
	s_cbranch_execz .LBB25_134
; %bb.129:
	v_cmp_lt_i32_e32 vcc, v25, v22
	s_waitcnt lgkmcnt(0)
	v_cmp_nlt_f32_e64 s[0:1], v12, v10
	s_and_b64 s[12:13], vcc, s[0:1]
	s_mov_b64 s[10:11], -1
	s_and_saveexec_b64 s[0:1], s[12:13]
	s_cbranch_execz .LBB25_133
; %bb.130:
	v_cmp_eq_f32_e32 vcc, v12, v10
	s_mov_b64 s[10:11], 0
	s_and_saveexec_b64 s[12:13], vcc
; %bb.131:
	v_cmp_lt_f32_e32 vcc, v13, v11
	s_and_b64 s[10:11], vcc, exec
; %bb.132:
	s_or_b64 exec, exec, s[12:13]
	s_orn2_b64 s[10:11], s[10:11], exec
.LBB25_133:
	s_or_b64 exec, exec, s[0:1]
	s_andn2_b64 s[0:1], s[6:7], exec
	s_and_b64 s[6:7], s[10:11], exec
	s_or_b64 s[6:7], s[0:1], s[6:7]
.LBB25_134:
	s_or_b64 exec, exec, s[8:9]
	s_xor_b64 s[0:1], s[6:7], -1
                                        ; implicit-def: $vgpr14_vgpr15
	s_and_saveexec_b64 s[8:9], s[0:1]
	s_xor_b64 s[0:1], exec, s[8:9]
	s_cbranch_execz .LBB25_136
; %bb.135:
	v_lshl_add_u32 v14, v25, 3, v18
	ds_read_b64 v[14:15], v14 offset:8
.LBB25_136:
	s_or_saveexec_b64 s[0:1], s[0:1]
	s_waitcnt lgkmcnt(0)
	v_pk_mov_b32 v[16:17], v[12:13], v[12:13] op_sel:[0,1]
	s_xor_b64 exec, exec, s[0:1]
	s_cbranch_execz .LBB25_138
; %bb.137:
	v_lshl_add_u32 v14, v24, 3, v18
	ds_read_b64 v[16:17], v14 offset:8
	v_pk_mov_b32 v[14:15], v[10:11], v[10:11] op_sel:[0,1]
.LBB25_138:
	s_or_b64 exec, exec, s[0:1]
	v_add_u32_e32 v26, 1, v24
	v_cndmask_b32_e64 v24, v24, v26, s[6:7]
	v_cmp_lt_i32_e32 vcc, v24, v23
	s_mov_b64 s[0:1], 0
	s_and_saveexec_b64 s[8:9], vcc
	s_cbranch_execz .LBB25_144
; %bb.139:
	v_add_u32_e32 v23, 1, v25
	v_cndmask_b32_e64 v23, v23, v25, s[6:7]
	v_cmp_lt_i32_e32 vcc, v23, v22
	s_waitcnt lgkmcnt(0)
	v_cmp_nlt_f32_e64 s[0:1], v16, v14
	s_and_b64 s[12:13], vcc, s[0:1]
	s_mov_b64 s[10:11], -1
	s_and_saveexec_b64 s[0:1], s[12:13]
	s_cbranch_execz .LBB25_143
; %bb.140:
	v_cmp_eq_f32_e32 vcc, v16, v14
	s_mov_b64 s[10:11], 0
	s_and_saveexec_b64 s[12:13], vcc
; %bb.141:
	v_cmp_lt_f32_e32 vcc, v17, v15
	s_and_b64 s[10:11], vcc, exec
; %bb.142:
	s_or_b64 exec, exec, s[12:13]
	s_orn2_b64 s[10:11], s[10:11], exec
.LBB25_143:
	s_or_b64 exec, exec, s[0:1]
	s_and_b64 s[0:1], s[10:11], exec
.LBB25_144:
	s_or_b64 exec, exec, s[8:9]
	v_cndmask_b32_e64 v10, v10, v12, s[6:7]
	v_cndmask_b32_e64 v7, v7, v9, s[4:5]
	;; [unrolled: 1-line block ×6, first 2 shown]
	s_waitcnt lgkmcnt(0)
	v_cndmask_b32_e64 v5, v15, v17, s[0:1]
	v_cndmask_b32_e64 v4, v14, v16, s[0:1]
	; wave barrier
	ds_write2_b64 v20, v[2:3], v[6:7] offset1:1
	ds_write2_b64 v20, v[10:11], v[4:5] offset0:2 offset1:3
	v_and_b32_e32 v10, 64, v21
	v_and_b32_e32 v6, 60, v21
	v_or_b32_e32 v21, 32, v10
	v_add_u32_e32 v22, 64, v10
	v_sub_u32_e32 v4, v22, v21
	v_sub_u32_e32 v3, v21, v10
	;; [unrolled: 1-line block ×3, first 2 shown]
	v_cmp_ge_i32_e32 vcc, v6, v4
	v_cndmask_b32_e32 v11, 0, v5, vcc
	v_min_i32_e32 v3, v6, v3
	v_lshl_add_u32 v2, v10, 3, v18
	v_cmp_lt_i32_e32 vcc, v11, v3
	; wave barrier
	s_and_saveexec_b64 s[0:1], vcc
	s_cbranch_execz .LBB25_152
; %bb.145:
	v_lshlrev_b32_e32 v4, 3, v6
	s_movk_i32 s2, 0x100
	v_add3_u32 v4, v2, v4, s2
	s_mov_b64 s[2:3], 0
                                        ; implicit-def: $sgpr4_sgpr5
	s_branch .LBB25_148
.LBB25_146:                             ;   in Loop: Header=BB25_148 Depth=1
	s_or_b64 exec, exec, s[10:11]
	s_andn2_b64 s[4:5], s[4:5], exec
	s_and_b64 s[8:9], s[8:9], exec
	s_or_b64 s[4:5], s[4:5], s[8:9]
.LBB25_147:                             ;   in Loop: Header=BB25_148 Depth=1
	s_or_b64 exec, exec, s[6:7]
	v_add_u32_e32 v7, 1, v5
	v_cndmask_b32_e64 v3, v3, v5, s[4:5]
	v_cndmask_b32_e64 v11, v7, v11, s[4:5]
	v_cmp_ge_i32_e32 vcc, v11, v3
	s_or_b64 s[2:3], vcc, s[2:3]
	s_andn2_b64 exec, exec, s[2:3]
	s_cbranch_execz .LBB25_151
.LBB25_148:                             ; =>This Inner Loop Header: Depth=1
	v_sub_u32_e32 v5, v3, v11
	v_lshrrev_b32_e32 v7, 31, v5
	v_add_u32_e32 v5, v5, v7
	v_ashrrev_i32_e32 v5, 1, v5
	v_add_u32_e32 v5, v5, v11
	v_lshl_add_u32 v7, v5, 3, v2
	v_not_b32_e32 v8, v5
	v_lshl_add_u32 v8, v8, 3, v4
	ds_read_b32 v9, v7
	ds_read_b32 v12, v8
	s_or_b64 s[4:5], s[4:5], exec
	s_waitcnt lgkmcnt(0)
	v_cmp_nlt_f32_e32 vcc, v12, v9
	s_and_saveexec_b64 s[6:7], vcc
	s_cbranch_execz .LBB25_147
; %bb.149:                              ;   in Loop: Header=BB25_148 Depth=1
	v_cmp_eq_f32_e32 vcc, v12, v9
	s_mov_b64 s[8:9], 0
	s_and_saveexec_b64 s[10:11], vcc
	s_cbranch_execz .LBB25_146
; %bb.150:                              ;   in Loop: Header=BB25_148 Depth=1
	ds_read_b32 v8, v8 offset:4
	ds_read_b32 v7, v7 offset:4
	s_waitcnt lgkmcnt(0)
	v_cmp_lt_f32_e32 vcc, v8, v7
	s_and_b64 s[8:9], vcc, exec
	s_branch .LBB25_146
.LBB25_151:
	s_or_b64 exec, exec, s[2:3]
.LBB25_152:
	s_or_b64 exec, exec, s[0:1]
	v_lshl_add_u32 v8, v11, 3, v2
	v_add_u32_e32 v2, v10, v6
	v_sub_u32_e32 v2, v2, v11
	v_lshl_add_u32 v13, v2, 3, v18
	ds_read_b64 v[2:3], v8
	ds_read_b64 v[4:5], v13 offset:256
	v_add_u32_e32 v6, v21, v6
	v_sub_u32_e32 v12, v6, v11
	v_cmp_le_i32_e32 vcc, v22, v12
                                        ; implicit-def: $sgpr2_sgpr3
	s_and_saveexec_b64 s[0:1], vcc
	s_xor_b64 s[0:1], exec, s[0:1]
; %bb.153:
	s_mov_b64 s[2:3], 0
; %bb.154:
	s_andn2_saveexec_b64 s[4:5], s[0:1]
	s_cbranch_execz .LBB25_160
; %bb.155:
	v_cmp_gt_i32_e32 vcc, 32, v11
	s_waitcnt lgkmcnt(0)
	v_cmp_nlt_f32_e64 s[0:1], v4, v2
	s_and_b64 s[8:9], vcc, s[0:1]
	s_mov_b64 s[6:7], -1
	s_and_saveexec_b64 s[0:1], s[8:9]
	s_cbranch_execz .LBB25_159
; %bb.156:
	v_cmp_eq_f32_e32 vcc, v4, v2
	s_mov_b64 s[6:7], 0
	s_and_saveexec_b64 s[8:9], vcc
; %bb.157:
	v_cmp_lt_f32_e32 vcc, v5, v3
	s_and_b64 s[6:7], vcc, exec
; %bb.158:
	s_or_b64 exec, exec, s[8:9]
	s_orn2_b64 s[6:7], s[6:7], exec
.LBB25_159:
	s_or_b64 exec, exec, s[0:1]
	s_andn2_b64 s[0:1], s[2:3], exec
	s_and_b64 s[2:3], s[6:7], exec
	s_or_b64 s[2:3], s[0:1], s[2:3]
.LBB25_160:
	s_or_b64 exec, exec, s[4:5]
	s_xor_b64 s[0:1], s[2:3], -1
                                        ; implicit-def: $vgpr6_vgpr7
	s_and_saveexec_b64 s[4:5], s[0:1]
	s_xor_b64 s[0:1], exec, s[4:5]
	s_cbranch_execz .LBB25_162
; %bb.161:
	ds_read_b64 v[6:7], v8 offset:8
                                        ; implicit-def: $vgpr13
.LBB25_162:
	s_or_saveexec_b64 s[0:1], s[0:1]
	s_waitcnt lgkmcnt(0)
	v_pk_mov_b32 v[8:9], v[4:5], v[4:5] op_sel:[0,1]
	s_xor_b64 exec, exec, s[0:1]
	s_cbranch_execz .LBB25_164
; %bb.163:
	ds_read_b64 v[8:9], v13 offset:264
	v_pk_mov_b32 v[6:7], v[2:3], v[2:3] op_sel:[0,1]
.LBB25_164:
	s_or_b64 exec, exec, s[0:1]
	v_add_u32_e32 v10, v11, v10
	v_add_u32_e32 v11, 1, v12
	v_add_u32_e32 v13, 1, v10
	v_cndmask_b32_e64 v15, v12, v11, s[2:3]
	v_cndmask_b32_e64 v14, v13, v10, s[2:3]
	v_cmp_lt_i32_e32 vcc, v15, v22
	s_mov_b64 s[4:5], 0
	s_and_saveexec_b64 s[6:7], vcc
	s_cbranch_execz .LBB25_170
; %bb.165:
	v_cmp_lt_i32_e32 vcc, v14, v21
	s_waitcnt lgkmcnt(0)
	v_cmp_nlt_f32_e64 s[0:1], v8, v6
	s_and_b64 s[8:9], vcc, s[0:1]
	s_mov_b64 s[4:5], -1
	s_and_saveexec_b64 s[0:1], s[8:9]
	s_cbranch_execz .LBB25_169
; %bb.166:
	v_cmp_eq_f32_e32 vcc, v8, v6
	s_mov_b64 s[4:5], 0
	s_and_saveexec_b64 s[8:9], vcc
; %bb.167:
	v_cmp_lt_f32_e32 vcc, v9, v7
	s_and_b64 s[4:5], vcc, exec
; %bb.168:
	s_or_b64 exec, exec, s[8:9]
	s_orn2_b64 s[4:5], s[4:5], exec
.LBB25_169:
	s_or_b64 exec, exec, s[0:1]
	s_and_b64 s[4:5], s[4:5], exec
.LBB25_170:
	s_or_b64 exec, exec, s[6:7]
	s_xor_b64 s[0:1], s[4:5], -1
                                        ; implicit-def: $vgpr10_vgpr11
	s_and_saveexec_b64 s[6:7], s[0:1]
	s_xor_b64 s[0:1], exec, s[6:7]
	s_cbranch_execz .LBB25_172
; %bb.171:
	v_lshl_add_u32 v10, v14, 3, v18
	ds_read_b64 v[10:11], v10 offset:8
.LBB25_172:
	s_or_saveexec_b64 s[0:1], s[0:1]
	s_waitcnt lgkmcnt(0)
	v_pk_mov_b32 v[12:13], v[8:9], v[8:9] op_sel:[0,1]
	s_xor_b64 exec, exec, s[0:1]
	s_cbranch_execz .LBB25_174
; %bb.173:
	v_lshl_add_u32 v10, v15, 3, v18
	ds_read_b64 v[12:13], v10 offset:8
	v_pk_mov_b32 v[10:11], v[6:7], v[6:7] op_sel:[0,1]
.LBB25_174:
	s_or_b64 exec, exec, s[0:1]
	v_add_u32_e32 v17, 1, v15
	v_cndmask_b32_e64 v23, v15, v17, s[4:5]
	v_add_u32_e32 v16, 1, v14
	v_cmp_ge_i32_e32 vcc, v23, v22
                                        ; implicit-def: $sgpr6_sgpr7
	s_and_saveexec_b64 s[0:1], vcc
	s_xor_b64 s[0:1], exec, s[0:1]
; %bb.175:
	s_mov_b64 s[6:7], 0
; %bb.176:
	s_or_saveexec_b64 s[8:9], s[0:1]
	v_cndmask_b32_e64 v24, v16, v14, s[4:5]
	s_xor_b64 exec, exec, s[8:9]
	s_cbranch_execz .LBB25_182
; %bb.177:
	v_cmp_lt_i32_e32 vcc, v24, v21
	s_waitcnt lgkmcnt(0)
	v_cmp_nlt_f32_e64 s[0:1], v12, v10
	s_and_b64 s[12:13], vcc, s[0:1]
	s_mov_b64 s[10:11], -1
	s_and_saveexec_b64 s[0:1], s[12:13]
	s_cbranch_execz .LBB25_181
; %bb.178:
	v_cmp_eq_f32_e32 vcc, v12, v10
	s_mov_b64 s[10:11], 0
	s_and_saveexec_b64 s[12:13], vcc
; %bb.179:
	v_cmp_lt_f32_e32 vcc, v13, v11
	s_and_b64 s[10:11], vcc, exec
; %bb.180:
	s_or_b64 exec, exec, s[12:13]
	s_orn2_b64 s[10:11], s[10:11], exec
.LBB25_181:
	s_or_b64 exec, exec, s[0:1]
	s_andn2_b64 s[0:1], s[6:7], exec
	s_and_b64 s[6:7], s[10:11], exec
	s_or_b64 s[6:7], s[0:1], s[6:7]
.LBB25_182:
	s_or_b64 exec, exec, s[8:9]
	s_xor_b64 s[0:1], s[6:7], -1
                                        ; implicit-def: $vgpr14_vgpr15
	s_and_saveexec_b64 s[8:9], s[0:1]
	s_xor_b64 s[0:1], exec, s[8:9]
	s_cbranch_execz .LBB25_184
; %bb.183:
	v_lshl_add_u32 v14, v24, 3, v18
	ds_read_b64 v[14:15], v14 offset:8
.LBB25_184:
	s_or_saveexec_b64 s[0:1], s[0:1]
	s_waitcnt lgkmcnt(0)
	v_pk_mov_b32 v[16:17], v[12:13], v[12:13] op_sel:[0,1]
	s_xor_b64 exec, exec, s[0:1]
	s_cbranch_execz .LBB25_186
; %bb.185:
	v_lshl_add_u32 v14, v23, 3, v18
	ds_read_b64 v[16:17], v14 offset:8
	v_pk_mov_b32 v[14:15], v[10:11], v[10:11] op_sel:[0,1]
.LBB25_186:
	s_or_b64 exec, exec, s[0:1]
	v_add_u32_e32 v25, 1, v23
	v_cndmask_b32_e64 v23, v23, v25, s[6:7]
	v_cmp_lt_i32_e32 vcc, v23, v22
	s_mov_b64 s[0:1], 0
	s_and_saveexec_b64 s[8:9], vcc
	s_cbranch_execz .LBB25_192
; %bb.187:
	v_add_u32_e32 v22, 1, v24
	v_cndmask_b32_e64 v22, v22, v24, s[6:7]
	v_cmp_lt_i32_e32 vcc, v22, v21
	s_waitcnt lgkmcnt(0)
	v_cmp_nlt_f32_e64 s[0:1], v16, v14
	s_and_b64 s[12:13], vcc, s[0:1]
	s_mov_b64 s[10:11], -1
	s_and_saveexec_b64 s[0:1], s[12:13]
	s_cbranch_execz .LBB25_191
; %bb.188:
	v_cmp_eq_f32_e32 vcc, v16, v14
	s_mov_b64 s[10:11], 0
	s_and_saveexec_b64 s[12:13], vcc
; %bb.189:
	v_cmp_lt_f32_e32 vcc, v17, v15
	s_and_b64 s[10:11], vcc, exec
; %bb.190:
	s_or_b64 exec, exec, s[12:13]
	s_orn2_b64 s[10:11], s[10:11], exec
.LBB25_191:
	s_or_b64 exec, exec, s[0:1]
	s_and_b64 s[0:1], s[10:11], exec
.LBB25_192:
	s_or_b64 exec, exec, s[8:9]
	v_cndmask_b32_e64 v10, v10, v12, s[6:7]
	v_cndmask_b32_e64 v7, v7, v9, s[4:5]
	v_cndmask_b32_e64 v6, v6, v8, s[4:5]
	v_cndmask_b32_e64 v2, v2, v4, s[2:3]
	v_cndmask_b32_e64 v3, v3, v5, s[2:3]
	v_cndmask_b32_e64 v11, v11, v13, s[6:7]
	s_waitcnt lgkmcnt(0)
	v_cndmask_b32_e64 v5, v15, v17, s[0:1]
	v_cndmask_b32_e64 v4, v14, v16, s[0:1]
	; wave barrier
	ds_write2_b64 v20, v[2:3], v[6:7] offset1:1
	ds_write2_b64 v20, v[10:11], v[4:5] offset0:2 offset1:3
	v_sub_u32_e64 v10, v19, 64 clamp
	v_min_i32_e32 v2, 64, v19
	v_cmp_lt_u32_e32 vcc, v10, v2
	; wave barrier
	s_and_saveexec_b64 s[0:1], vcc
	s_cbranch_execz .LBB25_200
; %bb.193:
	v_add_u32_e32 v3, 0x200, v20
	s_mov_b64 s[2:3], 0
                                        ; implicit-def: $sgpr4_sgpr5
	s_branch .LBB25_196
.LBB25_194:                             ;   in Loop: Header=BB25_196 Depth=1
	s_or_b64 exec, exec, s[10:11]
	s_andn2_b64 s[4:5], s[4:5], exec
	s_and_b64 s[8:9], s[8:9], exec
	s_or_b64 s[4:5], s[4:5], s[8:9]
.LBB25_195:                             ;   in Loop: Header=BB25_196 Depth=1
	s_or_b64 exec, exec, s[6:7]
	v_add_u32_e32 v5, 1, v4
	v_cndmask_b32_e64 v2, v2, v4, s[4:5]
	v_cndmask_b32_e64 v10, v5, v10, s[4:5]
	v_cmp_ge_i32_e32 vcc, v10, v2
	s_or_b64 s[2:3], vcc, s[2:3]
	s_andn2_b64 exec, exec, s[2:3]
	s_cbranch_execz .LBB25_199
.LBB25_196:                             ; =>This Inner Loop Header: Depth=1
	v_sub_u32_e32 v4, v2, v10
	v_lshrrev_b32_e32 v5, 31, v4
	v_add_u32_e32 v4, v4, v5
	v_ashrrev_i32_e32 v4, 1, v4
	v_add_u32_e32 v4, v4, v10
	v_lshl_add_u32 v5, v4, 3, v18
	v_not_b32_e32 v6, v4
	v_lshl_add_u32 v6, v6, 3, v3
	ds_read_b32 v7, v5
	ds_read_b32 v8, v6
	s_or_b64 s[4:5], s[4:5], exec
	s_waitcnt lgkmcnt(0)
	v_cmp_nlt_f32_e32 vcc, v8, v7
	s_and_saveexec_b64 s[6:7], vcc
	s_cbranch_execz .LBB25_195
; %bb.197:                              ;   in Loop: Header=BB25_196 Depth=1
	v_cmp_eq_f32_e32 vcc, v8, v7
	s_mov_b64 s[8:9], 0
	s_and_saveexec_b64 s[10:11], vcc
	s_cbranch_execz .LBB25_194
; %bb.198:                              ;   in Loop: Header=BB25_196 Depth=1
	ds_read_b32 v6, v6 offset:4
	ds_read_b32 v5, v5 offset:4
	s_waitcnt lgkmcnt(0)
	v_cmp_lt_f32_e32 vcc, v6, v5
	s_and_b64 s[8:9], vcc, exec
	s_branch .LBB25_194
.LBB25_199:
	s_or_b64 exec, exec, s[2:3]
.LBB25_200:
	s_or_b64 exec, exec, s[0:1]
	v_sub_u32_e32 v6, v19, v10
	v_lshl_add_u32 v8, v10, 3, v18
	v_lshl_add_u32 v12, v6, 3, v18
	ds_read_b64 v[2:3], v8
	ds_read_b64 v[4:5], v12 offset:512
	v_add_u32_e32 v11, 64, v6
	s_movk_i32 s0, 0x80
	v_cmp_gt_i32_e32 vcc, s0, v11
	s_mov_b64 s[2:3], 0
	s_and_saveexec_b64 s[4:5], vcc
	s_cbranch_execz .LBB25_206
; %bb.201:
	v_cmp_gt_i32_e32 vcc, 64, v10
	s_waitcnt lgkmcnt(0)
	v_cmp_nlt_f32_e64 s[0:1], v4, v2
	s_and_b64 s[6:7], vcc, s[0:1]
	s_mov_b64 s[2:3], -1
	s_and_saveexec_b64 s[0:1], s[6:7]
	s_cbranch_execz .LBB25_205
; %bb.202:
	v_cmp_eq_f32_e32 vcc, v4, v2
	s_mov_b64 s[2:3], 0
	s_and_saveexec_b64 s[6:7], vcc
; %bb.203:
	v_cmp_lt_f32_e32 vcc, v5, v3
	s_and_b64 s[2:3], vcc, exec
; %bb.204:
	s_or_b64 exec, exec, s[6:7]
	s_orn2_b64 s[2:3], s[2:3], exec
.LBB25_205:
	s_or_b64 exec, exec, s[0:1]
	s_and_b64 s[2:3], s[2:3], exec
.LBB25_206:
	s_or_b64 exec, exec, s[4:5]
	s_xor_b64 s[0:1], s[2:3], -1
                                        ; implicit-def: $vgpr6_vgpr7
	s_and_saveexec_b64 s[4:5], s[0:1]
	s_xor_b64 s[0:1], exec, s[4:5]
	s_cbranch_execz .LBB25_208
; %bb.207:
	ds_read_b64 v[6:7], v8 offset:8
                                        ; implicit-def: $vgpr12
.LBB25_208:
	s_or_saveexec_b64 s[0:1], s[0:1]
	s_waitcnt lgkmcnt(0)
	v_pk_mov_b32 v[8:9], v[4:5], v[4:5] op_sel:[0,1]
	s_xor_b64 exec, exec, s[0:1]
	s_cbranch_execz .LBB25_210
; %bb.209:
	ds_read_b64 v[8:9], v12 offset:520
	v_pk_mov_b32 v[6:7], v[2:3], v[2:3] op_sel:[0,1]
.LBB25_210:
	s_or_b64 exec, exec, s[0:1]
	v_add_u32_e32 v12, 1, v11
	v_add_u32_e32 v13, 1, v10
	v_cndmask_b32_e64 v14, v11, v12, s[2:3]
	s_movk_i32 s0, 0x80
	v_cndmask_b32_e64 v15, v13, v10, s[2:3]
	v_cmp_gt_i32_e32 vcc, s0, v14
	s_mov_b64 s[4:5], 0
	s_and_saveexec_b64 s[6:7], vcc
	s_cbranch_execz .LBB25_216
; %bb.211:
	v_cmp_gt_i32_e32 vcc, 64, v15
	s_waitcnt lgkmcnt(0)
	v_cmp_nlt_f32_e64 s[0:1], v8, v6
	s_and_b64 s[8:9], vcc, s[0:1]
	s_mov_b64 s[4:5], -1
	s_and_saveexec_b64 s[0:1], s[8:9]
	s_cbranch_execz .LBB25_215
; %bb.212:
	v_cmp_eq_f32_e32 vcc, v8, v6
	s_mov_b64 s[4:5], 0
	s_and_saveexec_b64 s[8:9], vcc
; %bb.213:
	v_cmp_lt_f32_e32 vcc, v9, v7
	s_and_b64 s[4:5], vcc, exec
; %bb.214:
	s_or_b64 exec, exec, s[8:9]
	s_orn2_b64 s[4:5], s[4:5], exec
.LBB25_215:
	s_or_b64 exec, exec, s[0:1]
	s_and_b64 s[4:5], s[4:5], exec
.LBB25_216:
	s_or_b64 exec, exec, s[6:7]
	s_xor_b64 s[0:1], s[4:5], -1
                                        ; implicit-def: $vgpr10_vgpr11
	s_and_saveexec_b64 s[6:7], s[0:1]
	s_xor_b64 s[0:1], exec, s[6:7]
	s_cbranch_execz .LBB25_218
; %bb.217:
	v_lshl_add_u32 v10, v15, 3, v18
	ds_read_b64 v[10:11], v10 offset:8
.LBB25_218:
	s_or_saveexec_b64 s[0:1], s[0:1]
	s_waitcnt lgkmcnt(0)
	v_pk_mov_b32 v[12:13], v[8:9], v[8:9] op_sel:[0,1]
	s_xor_b64 exec, exec, s[0:1]
	s_cbranch_execz .LBB25_220
; %bb.219:
	v_lshl_add_u32 v10, v14, 3, v18
	ds_read_b64 v[12:13], v10 offset:8
	v_pk_mov_b32 v[10:11], v[6:7], v[6:7] op_sel:[0,1]
.LBB25_220:
	s_or_b64 exec, exec, s[0:1]
	v_add_u32_e32 v16, 1, v14
	v_add_u32_e32 v17, 1, v15
	v_cndmask_b32_e64 v20, v14, v16, s[4:5]
	s_movk_i32 s0, 0x80
	v_cndmask_b32_e64 v19, v17, v15, s[4:5]
	v_cmp_gt_i32_e32 vcc, s0, v20
	s_mov_b64 s[6:7], 0
	s_and_saveexec_b64 s[8:9], vcc
	s_cbranch_execz .LBB25_226
; %bb.221:
	v_cmp_gt_i32_e32 vcc, 64, v19
	s_waitcnt lgkmcnt(0)
	v_cmp_nlt_f32_e64 s[0:1], v12, v10
	s_and_b64 s[10:11], vcc, s[0:1]
	s_mov_b64 s[6:7], -1
	s_and_saveexec_b64 s[0:1], s[10:11]
	s_cbranch_execz .LBB25_225
; %bb.222:
	v_cmp_eq_f32_e32 vcc, v12, v10
	s_mov_b64 s[6:7], 0
	s_and_saveexec_b64 s[10:11], vcc
; %bb.223:
	v_cmp_lt_f32_e32 vcc, v13, v11
	s_and_b64 s[6:7], vcc, exec
; %bb.224:
	s_or_b64 exec, exec, s[10:11]
	s_orn2_b64 s[6:7], s[6:7], exec
.LBB25_225:
	s_or_b64 exec, exec, s[0:1]
	s_and_b64 s[6:7], s[6:7], exec
.LBB25_226:
	s_or_b64 exec, exec, s[8:9]
	s_xor_b64 s[0:1], s[6:7], -1
                                        ; implicit-def: $vgpr14_vgpr15
	s_and_saveexec_b64 s[8:9], s[0:1]
	s_xor_b64 s[0:1], exec, s[8:9]
	s_cbranch_execz .LBB25_228
; %bb.227:
	v_lshl_add_u32 v14, v19, 3, v18
	ds_read_b64 v[14:15], v14 offset:8
                                        ; implicit-def: $vgpr18
.LBB25_228:
	s_or_saveexec_b64 s[0:1], s[0:1]
	s_waitcnt lgkmcnt(0)
	v_pk_mov_b32 v[16:17], v[12:13], v[12:13] op_sel:[0,1]
	s_xor_b64 exec, exec, s[0:1]
	s_cbranch_execz .LBB25_230
; %bb.229:
	v_lshl_add_u32 v14, v20, 3, v18
	ds_read_b64 v[16:17], v14 offset:8
	v_pk_mov_b32 v[14:15], v[10:11], v[10:11] op_sel:[0,1]
.LBB25_230:
	s_or_b64 exec, exec, s[0:1]
	v_add_u32_e32 v18, 1, v20
	v_cndmask_b32_e64 v18, v20, v18, s[6:7]
	s_movk_i32 s0, 0x80
	v_cmp_gt_i32_e32 vcc, s0, v18
	s_mov_b64 s[0:1], 0
	s_and_saveexec_b64 s[8:9], vcc
	s_cbranch_execz .LBB25_236
; %bb.231:
	v_add_u32_e32 v18, 1, v19
	v_cndmask_b32_e64 v18, v18, v19, s[6:7]
	v_cmp_gt_i32_e32 vcc, 64, v18
	s_waitcnt lgkmcnt(0)
	v_cmp_nlt_f32_e64 s[0:1], v16, v14
	s_and_b64 s[12:13], vcc, s[0:1]
	s_mov_b64 s[10:11], -1
	s_and_saveexec_b64 s[0:1], s[12:13]
	s_cbranch_execz .LBB25_235
; %bb.232:
	v_cmp_eq_f32_e32 vcc, v16, v14
	s_mov_b64 s[10:11], 0
	s_and_saveexec_b64 s[12:13], vcc
; %bb.233:
	v_cmp_lt_f32_e32 vcc, v17, v15
	s_and_b64 s[10:11], vcc, exec
; %bb.234:
	s_or_b64 exec, exec, s[12:13]
	s_orn2_b64 s[10:11], s[10:11], exec
.LBB25_235:
	s_or_b64 exec, exec, s[0:1]
	s_and_b64 s[0:1], s[10:11], exec
.LBB25_236:
	s_or_b64 exec, exec, s[8:9]
	v_cndmask_b32_e64 v7, v7, v9, s[4:5]
	v_cndmask_b32_e64 v6, v6, v8, s[4:5]
	;; [unrolled: 1-line block ×6, first 2 shown]
	s_waitcnt lgkmcnt(0)
	v_cndmask_b32_e64 v13, v15, v17, s[0:1]
	v_cndmask_b32_e64 v12, v14, v16, s[0:1]
	global_store_dwordx4 v[0:1], v[4:7], off
	global_store_dwordx4 v[0:1], v[10:13], off offset:16
	s_endpgm
	.section	.rodata,"a",@progbits
	.p2align	6, 0x0
	.amdhsa_kernel _Z14sort_keys_fullILj256ELj32ELj4ELb0EN10test_utils16custom_test_typeIfEENS0_4lessEEvPT3_T4_
		.amdhsa_group_segment_fixed_size 8256
		.amdhsa_private_segment_fixed_size 0
		.amdhsa_kernarg_size 12
		.amdhsa_user_sgpr_count 6
		.amdhsa_user_sgpr_private_segment_buffer 1
		.amdhsa_user_sgpr_dispatch_ptr 0
		.amdhsa_user_sgpr_queue_ptr 0
		.amdhsa_user_sgpr_kernarg_segment_ptr 1
		.amdhsa_user_sgpr_dispatch_id 0
		.amdhsa_user_sgpr_flat_scratch_init 0
		.amdhsa_user_sgpr_kernarg_preload_length 0
		.amdhsa_user_sgpr_kernarg_preload_offset 0
		.amdhsa_user_sgpr_private_segment_size 0
		.amdhsa_uses_dynamic_stack 0
		.amdhsa_system_sgpr_private_segment_wavefront_offset 0
		.amdhsa_system_sgpr_workgroup_id_x 1
		.amdhsa_system_sgpr_workgroup_id_y 0
		.amdhsa_system_sgpr_workgroup_id_z 0
		.amdhsa_system_sgpr_workgroup_info 0
		.amdhsa_system_vgpr_workitem_id 0
		.amdhsa_next_free_vgpr 28
		.amdhsa_next_free_sgpr 14
		.amdhsa_accum_offset 28
		.amdhsa_reserve_vcc 1
		.amdhsa_reserve_flat_scratch 0
		.amdhsa_float_round_mode_32 0
		.amdhsa_float_round_mode_16_64 0
		.amdhsa_float_denorm_mode_32 3
		.amdhsa_float_denorm_mode_16_64 3
		.amdhsa_dx10_clamp 1
		.amdhsa_ieee_mode 1
		.amdhsa_fp16_overflow 0
		.amdhsa_tg_split 0
		.amdhsa_exception_fp_ieee_invalid_op 0
		.amdhsa_exception_fp_denorm_src 0
		.amdhsa_exception_fp_ieee_div_zero 0
		.amdhsa_exception_fp_ieee_overflow 0
		.amdhsa_exception_fp_ieee_underflow 0
		.amdhsa_exception_fp_ieee_inexact 0
		.amdhsa_exception_int_div_zero 0
	.end_amdhsa_kernel
	.section	.text._Z14sort_keys_fullILj256ELj32ELj4ELb0EN10test_utils16custom_test_typeIfEENS0_4lessEEvPT3_T4_,"axG",@progbits,_Z14sort_keys_fullILj256ELj32ELj4ELb0EN10test_utils16custom_test_typeIfEENS0_4lessEEvPT3_T4_,comdat
.Lfunc_end25:
	.size	_Z14sort_keys_fullILj256ELj32ELj4ELb0EN10test_utils16custom_test_typeIfEENS0_4lessEEvPT3_T4_, .Lfunc_end25-_Z14sort_keys_fullILj256ELj32ELj4ELb0EN10test_utils16custom_test_typeIfEENS0_4lessEEvPT3_T4_
                                        ; -- End function
	.section	.AMDGPU.csdata,"",@progbits
; Kernel info:
; codeLenInByte = 5904
; NumSgprs: 18
; NumVgprs: 28
; NumAgprs: 0
; TotalNumVgprs: 28
; ScratchSize: 0
; MemoryBound: 0
; FloatMode: 240
; IeeeMode: 1
; LDSByteSize: 8256 bytes/workgroup (compile time only)
; SGPRBlocks: 2
; VGPRBlocks: 3
; NumSGPRsForWavesPerEU: 18
; NumVGPRsForWavesPerEU: 28
; AccumOffset: 28
; Occupancy: 7
; WaveLimiterHint : 0
; COMPUTE_PGM_RSRC2:SCRATCH_EN: 0
; COMPUTE_PGM_RSRC2:USER_SGPR: 6
; COMPUTE_PGM_RSRC2:TRAP_HANDLER: 0
; COMPUTE_PGM_RSRC2:TGID_X_EN: 1
; COMPUTE_PGM_RSRC2:TGID_Y_EN: 0
; COMPUTE_PGM_RSRC2:TGID_Z_EN: 0
; COMPUTE_PGM_RSRC2:TIDIG_COMP_CNT: 0
; COMPUTE_PGM_RSRC3_GFX90A:ACCUM_OFFSET: 6
; COMPUTE_PGM_RSRC3_GFX90A:TG_SPLIT: 0
	.section	.text._Z14sort_keys_fullILj256ELj32ELj2ELb0EN10test_utils16custom_test_typeIfEENS0_4lessEEvPT3_T4_,"axG",@progbits,_Z14sort_keys_fullILj256ELj32ELj2ELb0EN10test_utils16custom_test_typeIfEENS0_4lessEEvPT3_T4_,comdat
	.protected	_Z14sort_keys_fullILj256ELj32ELj2ELb0EN10test_utils16custom_test_typeIfEENS0_4lessEEvPT3_T4_ ; -- Begin function _Z14sort_keys_fullILj256ELj32ELj2ELb0EN10test_utils16custom_test_typeIfEENS0_4lessEEvPT3_T4_
	.globl	_Z14sort_keys_fullILj256ELj32ELj2ELb0EN10test_utils16custom_test_typeIfEENS0_4lessEEvPT3_T4_
	.p2align	8
	.type	_Z14sort_keys_fullILj256ELj32ELj2ELb0EN10test_utils16custom_test_typeIfEENS0_4lessEEvPT3_T4_,@function
_Z14sort_keys_fullILj256ELj32ELj2ELb0EN10test_utils16custom_test_typeIfEENS0_4lessEEvPT3_T4_: ; @_Z14sort_keys_fullILj256ELj32ELj2ELb0EN10test_utils16custom_test_typeIfEENS0_4lessEEvPT3_T4_
; %bb.0:
	s_load_dwordx2 s[0:1], s[4:5], 0x0
	s_lshl_b32 s2, s6, 9
	s_mov_b32 s3, 0
	s_lshl_b64 s[2:3], s[2:3], 3
	v_lshlrev_b32_e32 v1, 4, v0
	s_waitcnt lgkmcnt(0)
	s_add_u32 s0, s0, s2
	s_addc_u32 s1, s1, s3
	global_load_dwordx4 v[18:21], v1, s[0:1]
	v_mbcnt_lo_u32_b32 v3, -1, 0
	v_lshrrev_b32_e32 v2, 5, v0
	v_mbcnt_hi_u32_b32 v0, -1, v3
	v_lshlrev_b32_e32 v13, 1, v0
	v_and_b32_e32 v14, 60, v13
	v_and_b32_e32 v10, 62, v13
	v_or_b32_e32 v15, 2, v14
	v_add_u32_e32 v16, 4, v14
	s_movk_i32 s2, 0x208
	v_and_b32_e32 v6, 2, v13
	v_lshlrev_b32_e32 v0, 3, v10
	v_sub_u32_e32 v5, v16, v15
	v_mad_u32_u24 v11, v2, s2, v0
	v_sub_u32_e32 v0, v15, v14
	v_sub_u32_e32 v7, v6, v5
	v_cmp_ge_i32_e32 vcc, v6, v5
	v_lshlrev_b32_e32 v3, 3, v14
	v_min_i32_e32 v4, v6, v0
	v_cndmask_b32_e32 v17, 0, v7, vcc
	v_mov_b32_e32 v5, s1
	v_add_co_u32_e32 v0, vcc, s0, v1
	v_mad_u32_u24 v3, v2, s2, v3
	v_addc_co_u32_e32 v1, vcc, 0, v5, vcc
	; wave barrier
	s_waitcnt vmcnt(0)
	v_cmp_neq_f32_e64 s[0:1], v20, v18
	v_cmp_nlt_f32_e64 s[2:3], v21, v19
	v_cmp_nlt_f32_e32 vcc, v20, v18
	s_or_b64 s[0:1], s[0:1], s[2:3]
	s_and_b64 vcc, vcc, s[0:1]
	v_cndmask_b32_e32 v9, v21, v19, vcc
	v_cndmask_b32_e32 v8, v20, v18, vcc
	;; [unrolled: 1-line block ×4, first 2 shown]
	v_cmp_lt_i32_e32 vcc, v17, v4
	ds_write2_b64 v11, v[8:9], v[18:19] offset1:1
	; wave barrier
	s_and_saveexec_b64 s[0:1], vcc
	s_cbranch_execz .LBB26_8
; %bb.1:
	v_lshlrev_b32_e32 v5, 3, v6
	v_add3_u32 v5, v3, v5, 16
	s_mov_b64 s[2:3], 0
                                        ; implicit-def: $sgpr4_sgpr5
	s_branch .LBB26_4
.LBB26_2:                               ;   in Loop: Header=BB26_4 Depth=1
	s_or_b64 exec, exec, s[10:11]
	s_andn2_b64 s[4:5], s[4:5], exec
	s_and_b64 s[8:9], s[8:9], exec
	s_or_b64 s[4:5], s[4:5], s[8:9]
.LBB26_3:                               ;   in Loop: Header=BB26_4 Depth=1
	s_or_b64 exec, exec, s[6:7]
	v_add_u32_e32 v8, 1, v7
	v_cndmask_b32_e64 v4, v4, v7, s[4:5]
	v_cndmask_b32_e64 v17, v8, v17, s[4:5]
	v_cmp_ge_i32_e32 vcc, v17, v4
	s_or_b64 s[2:3], vcc, s[2:3]
	s_andn2_b64 exec, exec, s[2:3]
	s_cbranch_execz .LBB26_7
.LBB26_4:                               ; =>This Inner Loop Header: Depth=1
	v_sub_u32_e32 v7, v4, v17
	v_lshrrev_b32_e32 v8, 31, v7
	v_add_u32_e32 v7, v7, v8
	v_ashrrev_i32_e32 v7, 1, v7
	v_add_u32_e32 v7, v7, v17
	v_lshl_add_u32 v8, v7, 3, v3
	v_not_b32_e32 v9, v7
	v_lshl_add_u32 v9, v9, 3, v5
	ds_read_b32 v12, v8
	ds_read_b32 v18, v9
	s_or_b64 s[4:5], s[4:5], exec
	s_waitcnt lgkmcnt(0)
	v_cmp_nlt_f32_e32 vcc, v18, v12
	s_and_saveexec_b64 s[6:7], vcc
	s_cbranch_execz .LBB26_3
; %bb.5:                                ;   in Loop: Header=BB26_4 Depth=1
	v_cmp_eq_f32_e32 vcc, v18, v12
	s_mov_b64 s[8:9], 0
	s_and_saveexec_b64 s[10:11], vcc
	s_cbranch_execz .LBB26_2
; %bb.6:                                ;   in Loop: Header=BB26_4 Depth=1
	ds_read_b32 v9, v9 offset:4
	ds_read_b32 v8, v8 offset:4
	s_waitcnt lgkmcnt(0)
	v_cmp_lt_f32_e32 vcc, v9, v8
	s_and_b64 s[8:9], vcc, exec
	s_branch .LBB26_2
.LBB26_7:
	s_or_b64 exec, exec, s[2:3]
.LBB26_8:
	s_or_b64 exec, exec, s[0:1]
	v_mul_u32_u24_e32 v12, 0x208, v2
	v_add_u32_e32 v2, v14, v6
	v_lshl_add_u32 v8, v17, 3, v3
	v_sub_u32_e32 v2, v2, v17
	v_lshl_add_u32 v19, v2, 3, v12
	ds_read_b64 v[2:3], v8
	ds_read_b64 v[4:5], v19 offset:16
	v_add_u32_e32 v6, v15, v6
	v_sub_u32_e32 v18, v6, v17
	v_cmp_le_i32_e32 vcc, v16, v18
                                        ; implicit-def: $sgpr2_sgpr3
	s_and_saveexec_b64 s[0:1], vcc
	s_xor_b64 s[0:1], exec, s[0:1]
; %bb.9:
	s_mov_b64 s[2:3], 0
; %bb.10:
	s_andn2_saveexec_b64 s[4:5], s[0:1]
	s_cbranch_execz .LBB26_16
; %bb.11:
	v_cmp_gt_i32_e32 vcc, 2, v17
	s_waitcnt lgkmcnt(0)
	v_cmp_nlt_f32_e64 s[0:1], v4, v2
	s_and_b64 s[8:9], vcc, s[0:1]
	s_mov_b64 s[6:7], -1
	s_and_saveexec_b64 s[0:1], s[8:9]
	s_cbranch_execz .LBB26_15
; %bb.12:
	v_cmp_eq_f32_e32 vcc, v4, v2
	s_mov_b64 s[6:7], 0
	s_and_saveexec_b64 s[8:9], vcc
; %bb.13:
	v_cmp_lt_f32_e32 vcc, v5, v3
	s_and_b64 s[6:7], vcc, exec
; %bb.14:
	s_or_b64 exec, exec, s[8:9]
	s_orn2_b64 s[6:7], s[6:7], exec
.LBB26_15:
	s_or_b64 exec, exec, s[0:1]
	s_andn2_b64 s[0:1], s[2:3], exec
	s_and_b64 s[2:3], s[6:7], exec
	s_or_b64 s[2:3], s[0:1], s[2:3]
.LBB26_16:
	s_or_b64 exec, exec, s[4:5]
	s_xor_b64 s[0:1], s[2:3], -1
                                        ; implicit-def: $vgpr6_vgpr7
	s_and_saveexec_b64 s[4:5], s[0:1]
	s_xor_b64 s[0:1], exec, s[4:5]
	s_cbranch_execz .LBB26_18
; %bb.17:
	ds_read_b64 v[6:7], v8 offset:8
                                        ; implicit-def: $vgpr19
.LBB26_18:
	s_or_saveexec_b64 s[0:1], s[0:1]
	s_waitcnt lgkmcnt(0)
	v_pk_mov_b32 v[8:9], v[4:5], v[4:5] op_sel:[0,1]
	s_xor_b64 exec, exec, s[0:1]
	s_cbranch_execz .LBB26_20
; %bb.19:
	ds_read_b64 v[8:9], v19 offset:24
	v_pk_mov_b32 v[6:7], v[2:3], v[2:3] op_sel:[0,1]
.LBB26_20:
	s_or_b64 exec, exec, s[0:1]
	v_add_u32_e32 v19, 1, v18
	v_cndmask_b32_e64 v18, v18, v19, s[2:3]
	v_cmp_lt_i32_e32 vcc, v18, v16
	s_mov_b64 s[0:1], 0
	s_and_saveexec_b64 s[4:5], vcc
	s_cbranch_execz .LBB26_26
; %bb.21:
	v_add_u32_e32 v14, v17, v14
	v_add_u32_e32 v16, 1, v14
	v_cndmask_b32_e64 v14, v16, v14, s[2:3]
	v_cmp_lt_i32_e32 vcc, v14, v15
	s_waitcnt lgkmcnt(0)
	v_cmp_nlt_f32_e64 s[0:1], v8, v6
	s_and_b64 s[8:9], vcc, s[0:1]
	s_mov_b64 s[6:7], -1
	s_and_saveexec_b64 s[0:1], s[8:9]
	s_cbranch_execz .LBB26_25
; %bb.22:
	v_cmp_eq_f32_e32 vcc, v8, v6
	s_mov_b64 s[6:7], 0
	s_and_saveexec_b64 s[8:9], vcc
; %bb.23:
	v_cmp_lt_f32_e32 vcc, v9, v7
	s_and_b64 s[6:7], vcc, exec
; %bb.24:
	s_or_b64 exec, exec, s[8:9]
	s_orn2_b64 s[6:7], s[6:7], exec
.LBB26_25:
	s_or_b64 exec, exec, s[0:1]
	s_and_b64 s[0:1], s[6:7], exec
.LBB26_26:
	s_or_b64 exec, exec, s[4:5]
	v_and_b32_e32 v15, 56, v13
	v_cndmask_b32_e64 v2, v2, v4, s[2:3]
	v_cndmask_b32_e64 v3, v3, v5, s[2:3]
	s_waitcnt lgkmcnt(0)
	v_cndmask_b32_e64 v5, v7, v9, s[0:1]
	v_cndmask_b32_e64 v4, v6, v8, s[0:1]
	v_or_b32_e32 v14, 4, v15
	v_add_u32_e32 v17, 8, v15
	; wave barrier
	ds_write2_b64 v11, v[2:3], v[4:5] offset1:1
	v_and_b32_e32 v6, 6, v13
	v_sub_u32_e32 v4, v17, v14
	v_sub_u32_e32 v3, v14, v15
	;; [unrolled: 1-line block ×3, first 2 shown]
	v_cmp_ge_i32_e32 vcc, v6, v4
	v_cndmask_b32_e32 v16, 0, v5, vcc
	v_min_i32_e32 v3, v6, v3
	v_lshl_add_u32 v2, v15, 3, v12
	v_cmp_lt_i32_e32 vcc, v16, v3
	; wave barrier
	s_and_saveexec_b64 s[0:1], vcc
	s_cbranch_execz .LBB26_34
; %bb.27:
	v_lshlrev_b32_e32 v4, 3, v6
	v_add3_u32 v4, v2, v4, 32
	s_mov_b64 s[2:3], 0
                                        ; implicit-def: $sgpr4_sgpr5
	s_branch .LBB26_30
.LBB26_28:                              ;   in Loop: Header=BB26_30 Depth=1
	s_or_b64 exec, exec, s[10:11]
	s_andn2_b64 s[4:5], s[4:5], exec
	s_and_b64 s[8:9], s[8:9], exec
	s_or_b64 s[4:5], s[4:5], s[8:9]
.LBB26_29:                              ;   in Loop: Header=BB26_30 Depth=1
	s_or_b64 exec, exec, s[6:7]
	v_add_u32_e32 v7, 1, v5
	v_cndmask_b32_e64 v3, v3, v5, s[4:5]
	v_cndmask_b32_e64 v16, v7, v16, s[4:5]
	v_cmp_ge_i32_e32 vcc, v16, v3
	s_or_b64 s[2:3], vcc, s[2:3]
	s_andn2_b64 exec, exec, s[2:3]
	s_cbranch_execz .LBB26_33
.LBB26_30:                              ; =>This Inner Loop Header: Depth=1
	v_sub_u32_e32 v5, v3, v16
	v_lshrrev_b32_e32 v7, 31, v5
	v_add_u32_e32 v5, v5, v7
	v_ashrrev_i32_e32 v5, 1, v5
	v_add_u32_e32 v5, v5, v16
	v_lshl_add_u32 v7, v5, 3, v2
	v_not_b32_e32 v8, v5
	v_lshl_add_u32 v8, v8, 3, v4
	ds_read_b32 v9, v7
	ds_read_b32 v18, v8
	s_or_b64 s[4:5], s[4:5], exec
	s_waitcnt lgkmcnt(0)
	v_cmp_nlt_f32_e32 vcc, v18, v9
	s_and_saveexec_b64 s[6:7], vcc
	s_cbranch_execz .LBB26_29
; %bb.31:                               ;   in Loop: Header=BB26_30 Depth=1
	v_cmp_eq_f32_e32 vcc, v18, v9
	s_mov_b64 s[8:9], 0
	s_and_saveexec_b64 s[10:11], vcc
	s_cbranch_execz .LBB26_28
; %bb.32:                               ;   in Loop: Header=BB26_30 Depth=1
	ds_read_b32 v8, v8 offset:4
	ds_read_b32 v7, v7 offset:4
	s_waitcnt lgkmcnt(0)
	v_cmp_lt_f32_e32 vcc, v8, v7
	s_and_b64 s[8:9], vcc, exec
	s_branch .LBB26_28
.LBB26_33:
	s_or_b64 exec, exec, s[2:3]
.LBB26_34:
	s_or_b64 exec, exec, s[0:1]
	v_lshl_add_u32 v8, v16, 3, v2
	v_add_u32_e32 v2, v15, v6
	v_sub_u32_e32 v2, v2, v16
	v_lshl_add_u32 v19, v2, 3, v12
	ds_read_b64 v[2:3], v8
	ds_read_b64 v[4:5], v19 offset:32
	v_add_u32_e32 v6, v14, v6
	v_sub_u32_e32 v18, v6, v16
	v_cmp_le_i32_e32 vcc, v17, v18
                                        ; implicit-def: $sgpr2_sgpr3
	s_and_saveexec_b64 s[0:1], vcc
	s_xor_b64 s[0:1], exec, s[0:1]
; %bb.35:
	s_mov_b64 s[2:3], 0
; %bb.36:
	s_andn2_saveexec_b64 s[4:5], s[0:1]
	s_cbranch_execz .LBB26_42
; %bb.37:
	v_cmp_gt_i32_e32 vcc, 4, v16
	s_waitcnt lgkmcnt(0)
	v_cmp_nlt_f32_e64 s[0:1], v4, v2
	s_and_b64 s[8:9], vcc, s[0:1]
	s_mov_b64 s[6:7], -1
	s_and_saveexec_b64 s[0:1], s[8:9]
	s_cbranch_execz .LBB26_41
; %bb.38:
	v_cmp_eq_f32_e32 vcc, v4, v2
	s_mov_b64 s[6:7], 0
	s_and_saveexec_b64 s[8:9], vcc
; %bb.39:
	v_cmp_lt_f32_e32 vcc, v5, v3
	s_and_b64 s[6:7], vcc, exec
; %bb.40:
	s_or_b64 exec, exec, s[8:9]
	s_orn2_b64 s[6:7], s[6:7], exec
.LBB26_41:
	s_or_b64 exec, exec, s[0:1]
	s_andn2_b64 s[0:1], s[2:3], exec
	s_and_b64 s[2:3], s[6:7], exec
	s_or_b64 s[2:3], s[0:1], s[2:3]
.LBB26_42:
	s_or_b64 exec, exec, s[4:5]
	s_xor_b64 s[0:1], s[2:3], -1
                                        ; implicit-def: $vgpr6_vgpr7
	s_and_saveexec_b64 s[4:5], s[0:1]
	s_xor_b64 s[0:1], exec, s[4:5]
	s_cbranch_execz .LBB26_44
; %bb.43:
	ds_read_b64 v[6:7], v8 offset:8
                                        ; implicit-def: $vgpr19
.LBB26_44:
	s_or_saveexec_b64 s[0:1], s[0:1]
	s_waitcnt lgkmcnt(0)
	v_pk_mov_b32 v[8:9], v[4:5], v[4:5] op_sel:[0,1]
	s_xor_b64 exec, exec, s[0:1]
	s_cbranch_execz .LBB26_46
; %bb.45:
	ds_read_b64 v[8:9], v19 offset:40
	v_pk_mov_b32 v[6:7], v[2:3], v[2:3] op_sel:[0,1]
.LBB26_46:
	s_or_b64 exec, exec, s[0:1]
	v_add_u32_e32 v19, 1, v18
	v_cndmask_b32_e64 v18, v18, v19, s[2:3]
	v_cmp_lt_i32_e32 vcc, v18, v17
	s_mov_b64 s[0:1], 0
	s_and_saveexec_b64 s[4:5], vcc
	s_cbranch_execz .LBB26_52
; %bb.47:
	v_add_u32_e32 v15, v16, v15
	v_add_u32_e32 v16, 1, v15
	v_cndmask_b32_e64 v15, v16, v15, s[2:3]
	v_cmp_lt_i32_e32 vcc, v15, v14
	s_waitcnt lgkmcnt(0)
	v_cmp_nlt_f32_e64 s[0:1], v8, v6
	s_and_b64 s[8:9], vcc, s[0:1]
	s_mov_b64 s[6:7], -1
	s_and_saveexec_b64 s[0:1], s[8:9]
	s_cbranch_execz .LBB26_51
; %bb.48:
	v_cmp_eq_f32_e32 vcc, v8, v6
	s_mov_b64 s[6:7], 0
	s_and_saveexec_b64 s[8:9], vcc
; %bb.49:
	v_cmp_lt_f32_e32 vcc, v9, v7
	s_and_b64 s[6:7], vcc, exec
; %bb.50:
	s_or_b64 exec, exec, s[8:9]
	s_orn2_b64 s[6:7], s[6:7], exec
.LBB26_51:
	s_or_b64 exec, exec, s[0:1]
	s_and_b64 s[0:1], s[6:7], exec
.LBB26_52:
	s_or_b64 exec, exec, s[4:5]
	v_and_b32_e32 v15, 48, v13
	v_cndmask_b32_e64 v2, v2, v4, s[2:3]
	v_cndmask_b32_e64 v3, v3, v5, s[2:3]
	s_waitcnt lgkmcnt(0)
	v_cndmask_b32_e64 v5, v7, v9, s[0:1]
	v_cndmask_b32_e64 v4, v6, v8, s[0:1]
	v_or_b32_e32 v14, 8, v15
	v_add_u32_e32 v17, 16, v15
	; wave barrier
	ds_write2_b64 v11, v[2:3], v[4:5] offset1:1
	v_and_b32_e32 v6, 14, v13
	v_sub_u32_e32 v4, v17, v14
	v_sub_u32_e32 v3, v14, v15
	;; [unrolled: 1-line block ×3, first 2 shown]
	v_cmp_ge_i32_e32 vcc, v6, v4
	v_cndmask_b32_e32 v16, 0, v5, vcc
	v_min_i32_e32 v3, v6, v3
	v_lshl_add_u32 v2, v15, 3, v12
	v_cmp_lt_i32_e32 vcc, v16, v3
	; wave barrier
	s_and_saveexec_b64 s[0:1], vcc
	s_cbranch_execz .LBB26_60
; %bb.53:
	v_lshlrev_b32_e32 v4, 3, v6
	v_add3_u32 v4, v2, v4, 64
	s_mov_b64 s[2:3], 0
                                        ; implicit-def: $sgpr4_sgpr5
	s_branch .LBB26_56
.LBB26_54:                              ;   in Loop: Header=BB26_56 Depth=1
	s_or_b64 exec, exec, s[10:11]
	s_andn2_b64 s[4:5], s[4:5], exec
	s_and_b64 s[8:9], s[8:9], exec
	s_or_b64 s[4:5], s[4:5], s[8:9]
.LBB26_55:                              ;   in Loop: Header=BB26_56 Depth=1
	s_or_b64 exec, exec, s[6:7]
	v_add_u32_e32 v7, 1, v5
	v_cndmask_b32_e64 v3, v3, v5, s[4:5]
	v_cndmask_b32_e64 v16, v7, v16, s[4:5]
	v_cmp_ge_i32_e32 vcc, v16, v3
	s_or_b64 s[2:3], vcc, s[2:3]
	s_andn2_b64 exec, exec, s[2:3]
	s_cbranch_execz .LBB26_59
.LBB26_56:                              ; =>This Inner Loop Header: Depth=1
	v_sub_u32_e32 v5, v3, v16
	v_lshrrev_b32_e32 v7, 31, v5
	v_add_u32_e32 v5, v5, v7
	v_ashrrev_i32_e32 v5, 1, v5
	v_add_u32_e32 v5, v5, v16
	v_lshl_add_u32 v7, v5, 3, v2
	v_not_b32_e32 v8, v5
	v_lshl_add_u32 v8, v8, 3, v4
	ds_read_b32 v9, v7
	ds_read_b32 v18, v8
	s_or_b64 s[4:5], s[4:5], exec
	s_waitcnt lgkmcnt(0)
	v_cmp_nlt_f32_e32 vcc, v18, v9
	s_and_saveexec_b64 s[6:7], vcc
	s_cbranch_execz .LBB26_55
; %bb.57:                               ;   in Loop: Header=BB26_56 Depth=1
	v_cmp_eq_f32_e32 vcc, v18, v9
	s_mov_b64 s[8:9], 0
	s_and_saveexec_b64 s[10:11], vcc
	s_cbranch_execz .LBB26_54
; %bb.58:                               ;   in Loop: Header=BB26_56 Depth=1
	ds_read_b32 v8, v8 offset:4
	ds_read_b32 v7, v7 offset:4
	s_waitcnt lgkmcnt(0)
	v_cmp_lt_f32_e32 vcc, v8, v7
	s_and_b64 s[8:9], vcc, exec
	s_branch .LBB26_54
.LBB26_59:
	s_or_b64 exec, exec, s[2:3]
.LBB26_60:
	s_or_b64 exec, exec, s[0:1]
	v_lshl_add_u32 v8, v16, 3, v2
	v_add_u32_e32 v2, v15, v6
	v_sub_u32_e32 v2, v2, v16
	v_lshl_add_u32 v19, v2, 3, v12
	ds_read_b64 v[2:3], v8
	ds_read_b64 v[4:5], v19 offset:64
	v_add_u32_e32 v6, v14, v6
	v_sub_u32_e32 v18, v6, v16
	v_cmp_le_i32_e32 vcc, v17, v18
                                        ; implicit-def: $sgpr2_sgpr3
	s_and_saveexec_b64 s[0:1], vcc
	s_xor_b64 s[0:1], exec, s[0:1]
; %bb.61:
	s_mov_b64 s[2:3], 0
; %bb.62:
	s_andn2_saveexec_b64 s[4:5], s[0:1]
	s_cbranch_execz .LBB26_68
; %bb.63:
	v_cmp_gt_i32_e32 vcc, 8, v16
	s_waitcnt lgkmcnt(0)
	v_cmp_nlt_f32_e64 s[0:1], v4, v2
	s_and_b64 s[8:9], vcc, s[0:1]
	s_mov_b64 s[6:7], -1
	s_and_saveexec_b64 s[0:1], s[8:9]
	s_cbranch_execz .LBB26_67
; %bb.64:
	v_cmp_eq_f32_e32 vcc, v4, v2
	s_mov_b64 s[6:7], 0
	s_and_saveexec_b64 s[8:9], vcc
; %bb.65:
	v_cmp_lt_f32_e32 vcc, v5, v3
	s_and_b64 s[6:7], vcc, exec
; %bb.66:
	s_or_b64 exec, exec, s[8:9]
	s_orn2_b64 s[6:7], s[6:7], exec
.LBB26_67:
	s_or_b64 exec, exec, s[0:1]
	s_andn2_b64 s[0:1], s[2:3], exec
	s_and_b64 s[2:3], s[6:7], exec
	s_or_b64 s[2:3], s[0:1], s[2:3]
.LBB26_68:
	s_or_b64 exec, exec, s[4:5]
	s_xor_b64 s[0:1], s[2:3], -1
                                        ; implicit-def: $vgpr6_vgpr7
	s_and_saveexec_b64 s[4:5], s[0:1]
	s_xor_b64 s[0:1], exec, s[4:5]
	s_cbranch_execz .LBB26_70
; %bb.69:
	ds_read_b64 v[6:7], v8 offset:8
                                        ; implicit-def: $vgpr19
.LBB26_70:
	s_or_saveexec_b64 s[0:1], s[0:1]
	s_waitcnt lgkmcnt(0)
	v_pk_mov_b32 v[8:9], v[4:5], v[4:5] op_sel:[0,1]
	s_xor_b64 exec, exec, s[0:1]
	s_cbranch_execz .LBB26_72
; %bb.71:
	ds_read_b64 v[8:9], v19 offset:72
	v_pk_mov_b32 v[6:7], v[2:3], v[2:3] op_sel:[0,1]
.LBB26_72:
	s_or_b64 exec, exec, s[0:1]
	v_add_u32_e32 v19, 1, v18
	v_cndmask_b32_e64 v18, v18, v19, s[2:3]
	v_cmp_lt_i32_e32 vcc, v18, v17
	s_mov_b64 s[0:1], 0
	s_and_saveexec_b64 s[4:5], vcc
	s_cbranch_execz .LBB26_78
; %bb.73:
	v_add_u32_e32 v15, v16, v15
	v_add_u32_e32 v16, 1, v15
	v_cndmask_b32_e64 v15, v16, v15, s[2:3]
	v_cmp_lt_i32_e32 vcc, v15, v14
	s_waitcnt lgkmcnt(0)
	v_cmp_nlt_f32_e64 s[0:1], v8, v6
	s_and_b64 s[8:9], vcc, s[0:1]
	s_mov_b64 s[6:7], -1
	s_and_saveexec_b64 s[0:1], s[8:9]
	s_cbranch_execz .LBB26_77
; %bb.74:
	v_cmp_eq_f32_e32 vcc, v8, v6
	s_mov_b64 s[6:7], 0
	s_and_saveexec_b64 s[8:9], vcc
; %bb.75:
	v_cmp_lt_f32_e32 vcc, v9, v7
	s_and_b64 s[6:7], vcc, exec
; %bb.76:
	s_or_b64 exec, exec, s[8:9]
	s_orn2_b64 s[6:7], s[6:7], exec
.LBB26_77:
	s_or_b64 exec, exec, s[0:1]
	s_and_b64 s[0:1], s[6:7], exec
.LBB26_78:
	s_or_b64 exec, exec, s[4:5]
	v_and_b32_e32 v14, 32, v13
	v_cndmask_b32_e64 v2, v2, v4, s[2:3]
	v_cndmask_b32_e64 v3, v3, v5, s[2:3]
	s_waitcnt lgkmcnt(0)
	v_cndmask_b32_e64 v5, v7, v9, s[0:1]
	v_cndmask_b32_e64 v4, v6, v8, s[0:1]
	v_and_b32_e32 v6, 30, v13
	v_or_b32_e32 v13, 16, v14
	v_add_u32_e32 v16, 32, v14
	; wave barrier
	ds_write2_b64 v11, v[2:3], v[4:5] offset1:1
	v_sub_u32_e32 v4, v16, v13
	v_sub_u32_e32 v3, v13, v14
	;; [unrolled: 1-line block ×3, first 2 shown]
	v_cmp_ge_i32_e32 vcc, v6, v4
	v_cndmask_b32_e32 v15, 0, v5, vcc
	v_min_i32_e32 v3, v6, v3
	v_lshl_add_u32 v2, v14, 3, v12
	v_cmp_lt_i32_e32 vcc, v15, v3
	; wave barrier
	s_and_saveexec_b64 s[0:1], vcc
	s_cbranch_execz .LBB26_86
; %bb.79:
	v_lshlrev_b32_e32 v4, 3, v6
	s_movk_i32 s2, 0x80
	v_add3_u32 v4, v2, v4, s2
	s_mov_b64 s[2:3], 0
                                        ; implicit-def: $sgpr4_sgpr5
	s_branch .LBB26_82
.LBB26_80:                              ;   in Loop: Header=BB26_82 Depth=1
	s_or_b64 exec, exec, s[10:11]
	s_andn2_b64 s[4:5], s[4:5], exec
	s_and_b64 s[8:9], s[8:9], exec
	s_or_b64 s[4:5], s[4:5], s[8:9]
.LBB26_81:                              ;   in Loop: Header=BB26_82 Depth=1
	s_or_b64 exec, exec, s[6:7]
	v_add_u32_e32 v7, 1, v5
	v_cndmask_b32_e64 v3, v3, v5, s[4:5]
	v_cndmask_b32_e64 v15, v7, v15, s[4:5]
	v_cmp_ge_i32_e32 vcc, v15, v3
	s_or_b64 s[2:3], vcc, s[2:3]
	s_andn2_b64 exec, exec, s[2:3]
	s_cbranch_execz .LBB26_85
.LBB26_82:                              ; =>This Inner Loop Header: Depth=1
	v_sub_u32_e32 v5, v3, v15
	v_lshrrev_b32_e32 v7, 31, v5
	v_add_u32_e32 v5, v5, v7
	v_ashrrev_i32_e32 v5, 1, v5
	v_add_u32_e32 v5, v5, v15
	v_lshl_add_u32 v7, v5, 3, v2
	v_not_b32_e32 v8, v5
	v_lshl_add_u32 v8, v8, 3, v4
	ds_read_b32 v9, v7
	ds_read_b32 v17, v8
	s_or_b64 s[4:5], s[4:5], exec
	s_waitcnt lgkmcnt(0)
	v_cmp_nlt_f32_e32 vcc, v17, v9
	s_and_saveexec_b64 s[6:7], vcc
	s_cbranch_execz .LBB26_81
; %bb.83:                               ;   in Loop: Header=BB26_82 Depth=1
	v_cmp_eq_f32_e32 vcc, v17, v9
	s_mov_b64 s[8:9], 0
	s_and_saveexec_b64 s[10:11], vcc
	s_cbranch_execz .LBB26_80
; %bb.84:                               ;   in Loop: Header=BB26_82 Depth=1
	ds_read_b32 v8, v8 offset:4
	ds_read_b32 v7, v7 offset:4
	s_waitcnt lgkmcnt(0)
	v_cmp_lt_f32_e32 vcc, v8, v7
	s_and_b64 s[8:9], vcc, exec
	s_branch .LBB26_80
.LBB26_85:
	s_or_b64 exec, exec, s[2:3]
.LBB26_86:
	s_or_b64 exec, exec, s[0:1]
	v_lshl_add_u32 v8, v15, 3, v2
	v_add_u32_e32 v2, v14, v6
	v_sub_u32_e32 v2, v2, v15
	v_lshl_add_u32 v18, v2, 3, v12
	ds_read_b64 v[2:3], v8
	ds_read_b64 v[4:5], v18 offset:128
	v_add_u32_e32 v6, v13, v6
	v_sub_u32_e32 v17, v6, v15
	v_cmp_le_i32_e32 vcc, v16, v17
                                        ; implicit-def: $sgpr2_sgpr3
	s_and_saveexec_b64 s[0:1], vcc
	s_xor_b64 s[0:1], exec, s[0:1]
; %bb.87:
	s_mov_b64 s[2:3], 0
; %bb.88:
	s_andn2_saveexec_b64 s[4:5], s[0:1]
	s_cbranch_execz .LBB26_94
; %bb.89:
	v_cmp_gt_i32_e32 vcc, 16, v15
	s_waitcnt lgkmcnt(0)
	v_cmp_nlt_f32_e64 s[0:1], v4, v2
	s_and_b64 s[8:9], vcc, s[0:1]
	s_mov_b64 s[6:7], -1
	s_and_saveexec_b64 s[0:1], s[8:9]
	s_cbranch_execz .LBB26_93
; %bb.90:
	v_cmp_eq_f32_e32 vcc, v4, v2
	s_mov_b64 s[6:7], 0
	s_and_saveexec_b64 s[8:9], vcc
; %bb.91:
	v_cmp_lt_f32_e32 vcc, v5, v3
	s_and_b64 s[6:7], vcc, exec
; %bb.92:
	s_or_b64 exec, exec, s[8:9]
	s_orn2_b64 s[6:7], s[6:7], exec
.LBB26_93:
	s_or_b64 exec, exec, s[0:1]
	s_andn2_b64 s[0:1], s[2:3], exec
	s_and_b64 s[2:3], s[6:7], exec
	s_or_b64 s[2:3], s[0:1], s[2:3]
.LBB26_94:
	s_or_b64 exec, exec, s[4:5]
	s_xor_b64 s[0:1], s[2:3], -1
                                        ; implicit-def: $vgpr6_vgpr7
	s_and_saveexec_b64 s[4:5], s[0:1]
	s_xor_b64 s[0:1], exec, s[4:5]
	s_cbranch_execz .LBB26_96
; %bb.95:
	ds_read_b64 v[6:7], v8 offset:8
                                        ; implicit-def: $vgpr18
.LBB26_96:
	s_or_saveexec_b64 s[0:1], s[0:1]
	s_waitcnt lgkmcnt(0)
	v_pk_mov_b32 v[8:9], v[4:5], v[4:5] op_sel:[0,1]
	s_xor_b64 exec, exec, s[0:1]
	s_cbranch_execz .LBB26_98
; %bb.97:
	ds_read_b64 v[8:9], v18 offset:136
	v_pk_mov_b32 v[6:7], v[2:3], v[2:3] op_sel:[0,1]
.LBB26_98:
	s_or_b64 exec, exec, s[0:1]
	v_add_u32_e32 v18, 1, v17
	v_cndmask_b32_e64 v17, v17, v18, s[2:3]
	v_cmp_lt_i32_e32 vcc, v17, v16
	s_mov_b64 s[0:1], 0
	s_and_saveexec_b64 s[4:5], vcc
	s_cbranch_execz .LBB26_104
; %bb.99:
	v_add_u32_e32 v14, v15, v14
	v_add_u32_e32 v15, 1, v14
	v_cndmask_b32_e64 v14, v15, v14, s[2:3]
	v_cmp_lt_i32_e32 vcc, v14, v13
	s_waitcnt lgkmcnt(0)
	v_cmp_nlt_f32_e64 s[0:1], v8, v6
	s_and_b64 s[8:9], vcc, s[0:1]
	s_mov_b64 s[6:7], -1
	s_and_saveexec_b64 s[0:1], s[8:9]
	s_cbranch_execz .LBB26_103
; %bb.100:
	v_cmp_eq_f32_e32 vcc, v8, v6
	s_mov_b64 s[6:7], 0
	s_and_saveexec_b64 s[8:9], vcc
; %bb.101:
	v_cmp_lt_f32_e32 vcc, v9, v7
	s_and_b64 s[6:7], vcc, exec
; %bb.102:
	s_or_b64 exec, exec, s[8:9]
	s_orn2_b64 s[6:7], s[6:7], exec
.LBB26_103:
	s_or_b64 exec, exec, s[0:1]
	s_and_b64 s[0:1], s[6:7], exec
.LBB26_104:
	s_or_b64 exec, exec, s[4:5]
	v_cndmask_b32_e64 v2, v2, v4, s[2:3]
	v_cndmask_b32_e64 v3, v3, v5, s[2:3]
	s_waitcnt lgkmcnt(0)
	v_cndmask_b32_e64 v5, v7, v9, s[0:1]
	v_cndmask_b32_e64 v4, v6, v8, s[0:1]
	; wave barrier
	ds_write2_b64 v11, v[2:3], v[4:5] offset1:1
	v_sub_u32_e64 v13, v10, 32 clamp
	v_min_i32_e32 v2, 32, v10
	v_cmp_lt_u32_e32 vcc, v13, v2
	; wave barrier
	s_and_saveexec_b64 s[0:1], vcc
	s_cbranch_execz .LBB26_112
; %bb.105:
	v_add_u32_e32 v3, 0x100, v11
	s_mov_b64 s[2:3], 0
                                        ; implicit-def: $sgpr4_sgpr5
	s_branch .LBB26_108
.LBB26_106:                             ;   in Loop: Header=BB26_108 Depth=1
	s_or_b64 exec, exec, s[10:11]
	s_andn2_b64 s[4:5], s[4:5], exec
	s_and_b64 s[8:9], s[8:9], exec
	s_or_b64 s[4:5], s[4:5], s[8:9]
.LBB26_107:                             ;   in Loop: Header=BB26_108 Depth=1
	s_or_b64 exec, exec, s[6:7]
	v_add_u32_e32 v5, 1, v4
	v_cndmask_b32_e64 v2, v2, v4, s[4:5]
	v_cndmask_b32_e64 v13, v5, v13, s[4:5]
	v_cmp_ge_i32_e32 vcc, v13, v2
	s_or_b64 s[2:3], vcc, s[2:3]
	s_andn2_b64 exec, exec, s[2:3]
	s_cbranch_execz .LBB26_111
.LBB26_108:                             ; =>This Inner Loop Header: Depth=1
	v_sub_u32_e32 v4, v2, v13
	v_lshrrev_b32_e32 v5, 31, v4
	v_add_u32_e32 v4, v4, v5
	v_ashrrev_i32_e32 v4, 1, v4
	v_add_u32_e32 v4, v4, v13
	v_lshl_add_u32 v5, v4, 3, v12
	v_not_b32_e32 v6, v4
	v_lshl_add_u32 v6, v6, 3, v3
	ds_read_b32 v7, v5
	ds_read_b32 v8, v6
	s_or_b64 s[4:5], s[4:5], exec
	s_waitcnt lgkmcnt(0)
	v_cmp_nlt_f32_e32 vcc, v8, v7
	s_and_saveexec_b64 s[6:7], vcc
	s_cbranch_execz .LBB26_107
; %bb.109:                              ;   in Loop: Header=BB26_108 Depth=1
	v_cmp_eq_f32_e32 vcc, v8, v7
	s_mov_b64 s[8:9], 0
	s_and_saveexec_b64 s[10:11], vcc
	s_cbranch_execz .LBB26_106
; %bb.110:                              ;   in Loop: Header=BB26_108 Depth=1
	ds_read_b32 v6, v6 offset:4
	ds_read_b32 v5, v5 offset:4
	s_waitcnt lgkmcnt(0)
	v_cmp_lt_f32_e32 vcc, v6, v5
	s_and_b64 s[8:9], vcc, exec
	s_branch .LBB26_106
.LBB26_111:
	s_or_b64 exec, exec, s[2:3]
.LBB26_112:
	s_or_b64 exec, exec, s[0:1]
	v_sub_u32_e32 v6, v10, v13
	v_lshl_add_u32 v8, v13, 3, v12
	v_lshl_add_u32 v11, v6, 3, v12
	ds_read_b64 v[2:3], v8
	ds_read_b64 v[4:5], v11 offset:256
	v_add_u32_e32 v10, 32, v6
	v_cmp_gt_i32_e32 vcc, 64, v10
	s_mov_b64 s[2:3], 0
	s_and_saveexec_b64 s[4:5], vcc
	s_cbranch_execz .LBB26_118
; %bb.113:
	v_cmp_gt_i32_e32 vcc, 32, v13
	s_waitcnt lgkmcnt(0)
	v_cmp_nlt_f32_e64 s[0:1], v4, v2
	s_and_b64 s[6:7], vcc, s[0:1]
	s_mov_b64 s[2:3], -1
	s_and_saveexec_b64 s[0:1], s[6:7]
	s_cbranch_execz .LBB26_117
; %bb.114:
	v_cmp_eq_f32_e32 vcc, v4, v2
	s_mov_b64 s[2:3], 0
	s_and_saveexec_b64 s[6:7], vcc
; %bb.115:
	v_cmp_lt_f32_e32 vcc, v5, v3
	s_and_b64 s[2:3], vcc, exec
; %bb.116:
	s_or_b64 exec, exec, s[6:7]
	s_orn2_b64 s[2:3], s[2:3], exec
.LBB26_117:
	s_or_b64 exec, exec, s[0:1]
	s_and_b64 s[2:3], s[2:3], exec
.LBB26_118:
	s_or_b64 exec, exec, s[4:5]
	s_xor_b64 s[0:1], s[2:3], -1
                                        ; implicit-def: $vgpr6_vgpr7
	s_and_saveexec_b64 s[4:5], s[0:1]
	s_xor_b64 s[0:1], exec, s[4:5]
	s_cbranch_execz .LBB26_120
; %bb.119:
	ds_read_b64 v[6:7], v8 offset:8
                                        ; implicit-def: $vgpr11
.LBB26_120:
	s_or_saveexec_b64 s[0:1], s[0:1]
	s_waitcnt lgkmcnt(0)
	v_pk_mov_b32 v[8:9], v[4:5], v[4:5] op_sel:[0,1]
	s_xor_b64 exec, exec, s[0:1]
	s_cbranch_execz .LBB26_122
; %bb.121:
	ds_read_b64 v[8:9], v11 offset:264
	v_pk_mov_b32 v[6:7], v[2:3], v[2:3] op_sel:[0,1]
.LBB26_122:
	s_or_b64 exec, exec, s[0:1]
	v_add_u32_e32 v11, 1, v10
	v_cndmask_b32_e64 v10, v10, v11, s[2:3]
	v_cmp_gt_i32_e32 vcc, 64, v10
	s_mov_b64 s[0:1], 0
	s_and_saveexec_b64 s[4:5], vcc
	s_cbranch_execz .LBB26_128
; %bb.123:
	v_add_u32_e32 v10, 1, v13
	v_cndmask_b32_e64 v10, v10, v13, s[2:3]
	v_cmp_gt_i32_e32 vcc, 32, v10
	s_waitcnt lgkmcnt(0)
	v_cmp_nlt_f32_e64 s[0:1], v8, v6
	s_and_b64 s[8:9], vcc, s[0:1]
	s_mov_b64 s[6:7], -1
	s_and_saveexec_b64 s[0:1], s[8:9]
	s_cbranch_execz .LBB26_127
; %bb.124:
	v_cmp_eq_f32_e32 vcc, v8, v6
	s_mov_b64 s[6:7], 0
	s_and_saveexec_b64 s[8:9], vcc
; %bb.125:
	v_cmp_lt_f32_e32 vcc, v9, v7
	s_and_b64 s[6:7], vcc, exec
; %bb.126:
	s_or_b64 exec, exec, s[8:9]
	s_orn2_b64 s[6:7], s[6:7], exec
.LBB26_127:
	s_or_b64 exec, exec, s[0:1]
	s_and_b64 s[0:1], s[6:7], exec
.LBB26_128:
	s_or_b64 exec, exec, s[4:5]
	v_cndmask_b32_e64 v3, v3, v5, s[2:3]
	v_cndmask_b32_e64 v2, v2, v4, s[2:3]
	s_waitcnt lgkmcnt(0)
	v_cndmask_b32_e64 v5, v7, v9, s[0:1]
	v_cndmask_b32_e64 v4, v6, v8, s[0:1]
	global_store_dwordx4 v[0:1], v[2:5], off
	s_endpgm
	.section	.rodata,"a",@progbits
	.p2align	6, 0x0
	.amdhsa_kernel _Z14sort_keys_fullILj256ELj32ELj2ELb0EN10test_utils16custom_test_typeIfEENS0_4lessEEvPT3_T4_
		.amdhsa_group_segment_fixed_size 4160
		.amdhsa_private_segment_fixed_size 0
		.amdhsa_kernarg_size 12
		.amdhsa_user_sgpr_count 6
		.amdhsa_user_sgpr_private_segment_buffer 1
		.amdhsa_user_sgpr_dispatch_ptr 0
		.amdhsa_user_sgpr_queue_ptr 0
		.amdhsa_user_sgpr_kernarg_segment_ptr 1
		.amdhsa_user_sgpr_dispatch_id 0
		.amdhsa_user_sgpr_flat_scratch_init 0
		.amdhsa_user_sgpr_kernarg_preload_length 0
		.amdhsa_user_sgpr_kernarg_preload_offset 0
		.amdhsa_user_sgpr_private_segment_size 0
		.amdhsa_uses_dynamic_stack 0
		.amdhsa_system_sgpr_private_segment_wavefront_offset 0
		.amdhsa_system_sgpr_workgroup_id_x 1
		.amdhsa_system_sgpr_workgroup_id_y 0
		.amdhsa_system_sgpr_workgroup_id_z 0
		.amdhsa_system_sgpr_workgroup_info 0
		.amdhsa_system_vgpr_workitem_id 0
		.amdhsa_next_free_vgpr 22
		.amdhsa_next_free_sgpr 12
		.amdhsa_accum_offset 24
		.amdhsa_reserve_vcc 1
		.amdhsa_reserve_flat_scratch 0
		.amdhsa_float_round_mode_32 0
		.amdhsa_float_round_mode_16_64 0
		.amdhsa_float_denorm_mode_32 3
		.amdhsa_float_denorm_mode_16_64 3
		.amdhsa_dx10_clamp 1
		.amdhsa_ieee_mode 1
		.amdhsa_fp16_overflow 0
		.amdhsa_tg_split 0
		.amdhsa_exception_fp_ieee_invalid_op 0
		.amdhsa_exception_fp_denorm_src 0
		.amdhsa_exception_fp_ieee_div_zero 0
		.amdhsa_exception_fp_ieee_overflow 0
		.amdhsa_exception_fp_ieee_underflow 0
		.amdhsa_exception_fp_ieee_inexact 0
		.amdhsa_exception_int_div_zero 0
	.end_amdhsa_kernel
	.section	.text._Z14sort_keys_fullILj256ELj32ELj2ELb0EN10test_utils16custom_test_typeIfEENS0_4lessEEvPT3_T4_,"axG",@progbits,_Z14sort_keys_fullILj256ELj32ELj2ELb0EN10test_utils16custom_test_typeIfEENS0_4lessEEvPT3_T4_,comdat
.Lfunc_end26:
	.size	_Z14sort_keys_fullILj256ELj32ELj2ELb0EN10test_utils16custom_test_typeIfEENS0_4lessEEvPT3_T4_, .Lfunc_end26-_Z14sort_keys_fullILj256ELj32ELj2ELb0EN10test_utils16custom_test_typeIfEENS0_4lessEEvPT3_T4_
                                        ; -- End function
	.section	.AMDGPU.csdata,"",@progbits
; Kernel info:
; codeLenInByte = 3348
; NumSgprs: 16
; NumVgprs: 22
; NumAgprs: 0
; TotalNumVgprs: 22
; ScratchSize: 0
; MemoryBound: 0
; FloatMode: 240
; IeeeMode: 1
; LDSByteSize: 4160 bytes/workgroup (compile time only)
; SGPRBlocks: 1
; VGPRBlocks: 2
; NumSGPRsForWavesPerEU: 16
; NumVGPRsForWavesPerEU: 22
; AccumOffset: 24
; Occupancy: 8
; WaveLimiterHint : 0
; COMPUTE_PGM_RSRC2:SCRATCH_EN: 0
; COMPUTE_PGM_RSRC2:USER_SGPR: 6
; COMPUTE_PGM_RSRC2:TRAP_HANDLER: 0
; COMPUTE_PGM_RSRC2:TGID_X_EN: 1
; COMPUTE_PGM_RSRC2:TGID_Y_EN: 0
; COMPUTE_PGM_RSRC2:TGID_Z_EN: 0
; COMPUTE_PGM_RSRC2:TIDIG_COMP_CNT: 0
; COMPUTE_PGM_RSRC3_GFX90A:ACCUM_OFFSET: 5
; COMPUTE_PGM_RSRC3_GFX90A:TG_SPLIT: 0
	.section	.text._Z14sort_keys_fullILj32ELj32ELj1ELb0E12hip_bfloat16N10test_utils4lessEEvPT3_T4_,"axG",@progbits,_Z14sort_keys_fullILj32ELj32ELj1ELb0E12hip_bfloat16N10test_utils4lessEEvPT3_T4_,comdat
	.protected	_Z14sort_keys_fullILj32ELj32ELj1ELb0E12hip_bfloat16N10test_utils4lessEEvPT3_T4_ ; -- Begin function _Z14sort_keys_fullILj32ELj32ELj1ELb0E12hip_bfloat16N10test_utils4lessEEvPT3_T4_
	.globl	_Z14sort_keys_fullILj32ELj32ELj1ELb0E12hip_bfloat16N10test_utils4lessEEvPT3_T4_
	.p2align	8
	.type	_Z14sort_keys_fullILj32ELj32ELj1ELb0E12hip_bfloat16N10test_utils4lessEEvPT3_T4_,@function
_Z14sort_keys_fullILj32ELj32ELj1ELb0E12hip_bfloat16N10test_utils4lessEEvPT3_T4_: ; @_Z14sort_keys_fullILj32ELj32ELj1ELb0E12hip_bfloat16N10test_utils4lessEEvPT3_T4_
; %bb.0:
	s_load_dwordx2 s[0:1], s[4:5], 0x0
	s_lshl_b32 s2, s6, 5
	s_mov_b32 s3, 0
	s_lshl_b64 s[2:3], s[2:3], 1
	v_lshlrev_b32_e32 v0, 1, v0
	s_waitcnt lgkmcnt(0)
	s_add_u32 s0, s0, s2
	s_addc_u32 s1, s1, s3
	global_load_ushort v10, v0, s[0:1]
	v_mbcnt_lo_u32_b32 v1, -1, 0
	v_mbcnt_hi_u32_b32 v4, -1, v1
	v_and_b32_e32 v6, 30, v4
	v_or_b32_e32 v5, 1, v6
	v_sub_u32_e32 v8, v6, v5
	v_and_b32_e32 v7, 1, v4
	v_sub_u32_e32 v1, v5, v6
	v_add_u32_e32 v8, 2, v8
	v_and_b32_e32 v2, 31, v4
	v_min_i32_e32 v9, v7, v1
	v_sub_u32_e32 v1, v7, v8
	v_cmp_ge_i32_e32 vcc, v7, v8
	v_lshlrev_b32_e32 v3, 1, v2
	v_cndmask_b32_e32 v8, 0, v1, vcc
	v_mov_b32_e32 v1, s1
	v_add_co_u32_e64 v0, s[0:1], s0, v0
	; wave barrier
	v_cmp_lt_i32_e32 vcc, v8, v9
	v_addc_co_u32_e64 v1, s[0:1], 0, v1, s[0:1]
	s_waitcnt vmcnt(0)
	ds_write_b16 v3, v10
	v_lshlrev_b32_e32 v10, 1, v6
	; wave barrier
	s_and_saveexec_b64 s[0:1], vcc
	s_cbranch_execz .LBB27_4
; %bb.1:
	v_lshlrev_b32_e32 v11, 1, v7
	v_add3_u32 v11, v10, v11, 2
	s_mov_b64 s[2:3], 0
.LBB27_2:                               ; =>This Inner Loop Header: Depth=1
	v_sub_u32_e32 v12, v9, v8
	v_lshrrev_b32_e32 v13, 31, v12
	v_add_u32_e32 v12, v12, v13
	v_ashrrev_i32_e32 v12, 1, v12
	v_add_u32_e32 v12, v12, v8
	v_not_b32_e32 v14, v12
	v_lshl_add_u32 v13, v12, 1, v10
	v_lshl_add_u32 v14, v14, 1, v11
	ds_read_u16 v13, v13
	ds_read_u16 v14, v14
	v_add_u32_e32 v15, 1, v12
	s_waitcnt lgkmcnt(1)
	v_lshlrev_b32_e32 v13, 16, v13
	s_waitcnt lgkmcnt(0)
	v_lshlrev_b32_e32 v14, 16, v14
	v_cmp_lt_f32_e32 vcc, v14, v13
	v_cndmask_b32_e32 v9, v9, v12, vcc
	v_cndmask_b32_e32 v8, v15, v8, vcc
	v_cmp_ge_i32_e32 vcc, v8, v9
	s_or_b64 s[2:3], vcc, s[2:3]
	s_andn2_b64 exec, exec, s[2:3]
	s_cbranch_execnz .LBB27_2
; %bb.3:
	s_or_b64 exec, exec, s[2:3]
.LBB27_4:
	s_or_b64 exec, exec, s[0:1]
	v_add_u32_e32 v6, v6, v7
	v_sub_u32_e32 v6, v6, v8
	v_lshl_add_u32 v10, v8, 1, v10
	v_lshlrev_b32_e32 v6, 1, v6
	v_add_u32_e32 v9, v5, v7
	ds_read_u16 v7, v10
	ds_read_u16 v6, v6 offset:2
	v_sub_u32_e32 v9, v9, v8
	v_cmp_ge_i32_e32 vcc, v5, v9
	v_cmp_lt_i32_e64 s[0:1], 0, v8
	s_waitcnt lgkmcnt(1)
	v_lshlrev_b32_e32 v5, 16, v7
	s_waitcnt lgkmcnt(0)
	v_lshlrev_b32_e32 v8, 16, v6
	v_cmp_lt_f32_e64 s[2:3], v8, v5
	s_or_b64 s[0:1], s[0:1], s[2:3]
	s_and_b64 vcc, vcc, s[0:1]
	v_cndmask_b32_e32 v5, v7, v6, vcc
	v_and_b32_e32 v6, 28, v4
	; wave barrier
	ds_write_b16 v3, v5
	v_or_b32_e32 v9, 2, v6
	v_add_u32_e32 v5, 4, v6
	v_and_b32_e32 v7, 3, v4
	v_sub_u32_e32 v8, v5, v9
	v_sub_u32_e32 v10, v9, v6
	;; [unrolled: 1-line block ×3, first 2 shown]
	v_cmp_ge_i32_e32 vcc, v7, v8
	v_cndmask_b32_e32 v8, 0, v11, vcc
	v_min_i32_e32 v11, v7, v10
	v_cmp_lt_i32_e32 vcc, v8, v11
	v_lshlrev_b32_e32 v10, 1, v6
	; wave barrier
	s_and_saveexec_b64 s[0:1], vcc
	s_cbranch_execz .LBB27_8
; %bb.5:
	v_lshlrev_b32_e32 v12, 1, v7
	v_add3_u32 v12, v10, v12, 4
	s_mov_b64 s[2:3], 0
.LBB27_6:                               ; =>This Inner Loop Header: Depth=1
	v_sub_u32_e32 v13, v11, v8
	v_lshrrev_b32_e32 v14, 31, v13
	v_add_u32_e32 v13, v13, v14
	v_ashrrev_i32_e32 v13, 1, v13
	v_add_u32_e32 v13, v13, v8
	v_not_b32_e32 v15, v13
	v_lshl_add_u32 v14, v13, 1, v10
	v_lshl_add_u32 v15, v15, 1, v12
	ds_read_u16 v14, v14
	ds_read_u16 v15, v15
	v_add_u32_e32 v16, 1, v13
	s_waitcnt lgkmcnt(1)
	v_lshlrev_b32_e32 v14, 16, v14
	s_waitcnt lgkmcnt(0)
	v_lshlrev_b32_e32 v15, 16, v15
	v_cmp_lt_f32_e32 vcc, v15, v14
	v_cndmask_b32_e32 v11, v11, v13, vcc
	v_cndmask_b32_e32 v8, v16, v8, vcc
	v_cmp_ge_i32_e32 vcc, v8, v11
	s_or_b64 s[2:3], vcc, s[2:3]
	s_andn2_b64 exec, exec, s[2:3]
	s_cbranch_execnz .LBB27_6
; %bb.7:
	s_or_b64 exec, exec, s[2:3]
.LBB27_8:
	s_or_b64 exec, exec, s[0:1]
	v_add_u32_e32 v6, v6, v7
	v_sub_u32_e32 v6, v6, v8
	v_lshl_add_u32 v10, v8, 1, v10
	v_lshlrev_b32_e32 v6, 1, v6
	v_add_u32_e32 v9, v9, v7
	ds_read_u16 v7, v10
	ds_read_u16 v6, v6 offset:4
	v_sub_u32_e32 v9, v9, v8
	v_cmp_gt_i32_e32 vcc, v5, v9
	v_cmp_lt_i32_e64 s[0:1], 1, v8
	s_waitcnt lgkmcnt(1)
	v_lshlrev_b32_e32 v5, 16, v7
	s_waitcnt lgkmcnt(0)
	v_lshlrev_b32_e32 v8, 16, v6
	v_cmp_lt_f32_e64 s[2:3], v8, v5
	s_or_b64 s[0:1], s[0:1], s[2:3]
	s_and_b64 vcc, vcc, s[0:1]
	v_cndmask_b32_e32 v5, v7, v6, vcc
	v_and_b32_e32 v6, 24, v4
	; wave barrier
	ds_write_b16 v3, v5
	v_or_b32_e32 v9, 4, v6
	v_add_u32_e32 v5, 8, v6
	v_and_b32_e32 v7, 7, v4
	v_sub_u32_e32 v8, v5, v9
	v_sub_u32_e32 v10, v9, v6
	;; [unrolled: 1-line block ×3, first 2 shown]
	v_cmp_ge_i32_e32 vcc, v7, v8
	v_cndmask_b32_e32 v8, 0, v11, vcc
	v_min_i32_e32 v11, v7, v10
	v_cmp_lt_i32_e32 vcc, v8, v11
	v_lshlrev_b32_e32 v10, 1, v6
	; wave barrier
	s_and_saveexec_b64 s[0:1], vcc
	s_cbranch_execz .LBB27_12
; %bb.9:
	v_lshlrev_b32_e32 v12, 1, v7
	v_add3_u32 v12, v10, v12, 8
	s_mov_b64 s[2:3], 0
.LBB27_10:                              ; =>This Inner Loop Header: Depth=1
	v_sub_u32_e32 v13, v11, v8
	v_lshrrev_b32_e32 v14, 31, v13
	v_add_u32_e32 v13, v13, v14
	v_ashrrev_i32_e32 v13, 1, v13
	v_add_u32_e32 v13, v13, v8
	v_not_b32_e32 v15, v13
	v_lshl_add_u32 v14, v13, 1, v10
	v_lshl_add_u32 v15, v15, 1, v12
	ds_read_u16 v14, v14
	ds_read_u16 v15, v15
	v_add_u32_e32 v16, 1, v13
	s_waitcnt lgkmcnt(1)
	v_lshlrev_b32_e32 v14, 16, v14
	s_waitcnt lgkmcnt(0)
	v_lshlrev_b32_e32 v15, 16, v15
	v_cmp_lt_f32_e32 vcc, v15, v14
	v_cndmask_b32_e32 v11, v11, v13, vcc
	v_cndmask_b32_e32 v8, v16, v8, vcc
	v_cmp_ge_i32_e32 vcc, v8, v11
	s_or_b64 s[2:3], vcc, s[2:3]
	s_andn2_b64 exec, exec, s[2:3]
	s_cbranch_execnz .LBB27_10
; %bb.11:
	s_or_b64 exec, exec, s[2:3]
.LBB27_12:
	s_or_b64 exec, exec, s[0:1]
	v_add_u32_e32 v6, v6, v7
	v_sub_u32_e32 v6, v6, v8
	v_lshl_add_u32 v10, v8, 1, v10
	v_lshlrev_b32_e32 v6, 1, v6
	v_add_u32_e32 v9, v9, v7
	ds_read_u16 v7, v10
	ds_read_u16 v6, v6 offset:8
	v_sub_u32_e32 v9, v9, v8
	v_cmp_gt_i32_e32 vcc, v5, v9
	v_cmp_lt_i32_e64 s[0:1], 3, v8
	s_waitcnt lgkmcnt(1)
	v_lshlrev_b32_e32 v5, 16, v7
	s_waitcnt lgkmcnt(0)
	v_lshlrev_b32_e32 v8, 16, v6
	v_cmp_lt_f32_e64 s[2:3], v8, v5
	s_or_b64 s[0:1], s[0:1], s[2:3]
	s_and_b64 vcc, vcc, s[0:1]
	v_cndmask_b32_e32 v5, v7, v6, vcc
	; wave barrier
	ds_write_b16 v3, v5
	v_and_b32_e32 v5, 16, v4
	v_and_b32_e32 v6, 15, v4
	v_or_b32_e32 v8, 8, v5
	v_add_u32_e32 v4, 16, v5
	v_sub_u32_e32 v7, v4, v8
	v_sub_u32_e32 v9, v8, v5
	v_sub_u32_e32 v10, v6, v7
	v_cmp_ge_i32_e32 vcc, v6, v7
	v_cndmask_b32_e32 v7, 0, v10, vcc
	v_min_i32_e32 v10, v6, v9
	v_cmp_lt_i32_e32 vcc, v7, v10
	v_lshlrev_b32_e32 v9, 1, v5
	; wave barrier
	s_and_saveexec_b64 s[0:1], vcc
	s_cbranch_execz .LBB27_16
; %bb.13:
	v_lshlrev_b32_e32 v11, 1, v6
	v_add3_u32 v11, v9, v11, 16
	s_mov_b64 s[2:3], 0
.LBB27_14:                              ; =>This Inner Loop Header: Depth=1
	v_sub_u32_e32 v12, v10, v7
	v_lshrrev_b32_e32 v13, 31, v12
	v_add_u32_e32 v12, v12, v13
	v_ashrrev_i32_e32 v12, 1, v12
	v_add_u32_e32 v12, v12, v7
	v_not_b32_e32 v14, v12
	v_lshl_add_u32 v13, v12, 1, v9
	v_lshl_add_u32 v14, v14, 1, v11
	ds_read_u16 v13, v13
	ds_read_u16 v14, v14
	v_add_u32_e32 v15, 1, v12
	s_waitcnt lgkmcnt(1)
	v_lshlrev_b32_e32 v13, 16, v13
	s_waitcnt lgkmcnt(0)
	v_lshlrev_b32_e32 v14, 16, v14
	v_cmp_lt_f32_e32 vcc, v14, v13
	v_cndmask_b32_e32 v10, v10, v12, vcc
	v_cndmask_b32_e32 v7, v15, v7, vcc
	v_cmp_ge_i32_e32 vcc, v7, v10
	s_or_b64 s[2:3], vcc, s[2:3]
	s_andn2_b64 exec, exec, s[2:3]
	s_cbranch_execnz .LBB27_14
; %bb.15:
	s_or_b64 exec, exec, s[2:3]
.LBB27_16:
	s_or_b64 exec, exec, s[0:1]
	v_add_u32_e32 v5, v5, v6
	v_sub_u32_e32 v5, v5, v7
	v_lshl_add_u32 v9, v7, 1, v9
	v_lshlrev_b32_e32 v5, 1, v5
	v_add_u32_e32 v8, v8, v6
	ds_read_u16 v6, v9
	ds_read_u16 v5, v5 offset:16
	v_sub_u32_e32 v8, v8, v7
	v_cmp_gt_i32_e32 vcc, v4, v8
	v_cmp_lt_i32_e64 s[0:1], 7, v7
	s_waitcnt lgkmcnt(1)
	v_lshlrev_b32_e32 v4, 16, v6
	s_waitcnt lgkmcnt(0)
	v_lshlrev_b32_e32 v7, 16, v5
	v_cmp_lt_f32_e64 s[2:3], v7, v4
	s_or_b64 s[0:1], s[0:1], s[2:3]
	s_and_b64 vcc, vcc, s[0:1]
	v_cndmask_b32_e32 v4, v6, v5, vcc
	; wave barrier
	ds_write_b16 v3, v4
	v_sub_u32_e64 v4, v2, 16 clamp
	v_min_i32_e32 v5, 16, v2
	v_cmp_lt_u32_e32 vcc, v4, v5
	; wave barrier
	s_and_saveexec_b64 s[0:1], vcc
	s_cbranch_execz .LBB27_20
; %bb.17:
	v_add_u32_e32 v3, 32, v3
	s_mov_b64 s[2:3], 0
.LBB27_18:                              ; =>This Inner Loop Header: Depth=1
	v_sub_u32_e32 v6, v5, v4
	v_lshrrev_b32_e32 v7, 31, v6
	v_add_u32_e32 v6, v6, v7
	v_ashrrev_i32_e32 v6, 1, v6
	v_add_u32_e32 v6, v6, v4
	v_not_b32_e32 v8, v6
	v_lshlrev_b32_e32 v7, 1, v6
	v_lshl_add_u32 v8, v8, 1, v3
	ds_read_u16 v7, v7
	ds_read_u16 v8, v8
	v_add_u32_e32 v9, 1, v6
	s_waitcnt lgkmcnt(1)
	v_lshlrev_b32_e32 v7, 16, v7
	s_waitcnt lgkmcnt(0)
	v_lshlrev_b32_e32 v8, 16, v8
	v_cmp_lt_f32_e32 vcc, v8, v7
	v_cndmask_b32_e32 v5, v5, v6, vcc
	v_cndmask_b32_e32 v4, v9, v4, vcc
	v_cmp_ge_i32_e32 vcc, v4, v5
	s_or_b64 s[2:3], vcc, s[2:3]
	s_andn2_b64 exec, exec, s[2:3]
	s_cbranch_execnz .LBB27_18
; %bb.19:
	s_or_b64 exec, exec, s[2:3]
.LBB27_20:
	s_or_b64 exec, exec, s[0:1]
	v_sub_u32_e32 v2, v2, v4
	v_lshlrev_b32_e32 v3, 1, v4
	v_lshlrev_b32_e32 v5, 1, v2
	ds_read_u16 v3, v3
	ds_read_u16 v5, v5 offset:32
	v_add_u32_e32 v2, 16, v2
	v_cmp_gt_i32_e32 vcc, 32, v2
	v_cmp_lt_i32_e64 s[0:1], 15, v4
	s_waitcnt lgkmcnt(1)
	v_lshlrev_b32_e32 v2, 16, v3
	s_waitcnt lgkmcnt(0)
	v_lshlrev_b32_e32 v4, 16, v5
	v_cmp_lt_f32_e64 s[2:3], v4, v2
	s_or_b64 s[0:1], s[0:1], s[2:3]
	s_and_b64 vcc, vcc, s[0:1]
	v_cndmask_b32_e32 v2, v3, v5, vcc
	global_store_short v[0:1], v2, off
	s_endpgm
	.section	.rodata,"a",@progbits
	.p2align	6, 0x0
	.amdhsa_kernel _Z14sort_keys_fullILj32ELj32ELj1ELb0E12hip_bfloat16N10test_utils4lessEEvPT3_T4_
		.amdhsa_group_segment_fixed_size 66
		.amdhsa_private_segment_fixed_size 0
		.amdhsa_kernarg_size 12
		.amdhsa_user_sgpr_count 6
		.amdhsa_user_sgpr_private_segment_buffer 1
		.amdhsa_user_sgpr_dispatch_ptr 0
		.amdhsa_user_sgpr_queue_ptr 0
		.amdhsa_user_sgpr_kernarg_segment_ptr 1
		.amdhsa_user_sgpr_dispatch_id 0
		.amdhsa_user_sgpr_flat_scratch_init 0
		.amdhsa_user_sgpr_kernarg_preload_length 0
		.amdhsa_user_sgpr_kernarg_preload_offset 0
		.amdhsa_user_sgpr_private_segment_size 0
		.amdhsa_uses_dynamic_stack 0
		.amdhsa_system_sgpr_private_segment_wavefront_offset 0
		.amdhsa_system_sgpr_workgroup_id_x 1
		.amdhsa_system_sgpr_workgroup_id_y 0
		.amdhsa_system_sgpr_workgroup_id_z 0
		.amdhsa_system_sgpr_workgroup_info 0
		.amdhsa_system_vgpr_workitem_id 0
		.amdhsa_next_free_vgpr 17
		.amdhsa_next_free_sgpr 7
		.amdhsa_accum_offset 20
		.amdhsa_reserve_vcc 1
		.amdhsa_reserve_flat_scratch 0
		.amdhsa_float_round_mode_32 0
		.amdhsa_float_round_mode_16_64 0
		.amdhsa_float_denorm_mode_32 3
		.amdhsa_float_denorm_mode_16_64 3
		.amdhsa_dx10_clamp 1
		.amdhsa_ieee_mode 1
		.amdhsa_fp16_overflow 0
		.amdhsa_tg_split 0
		.amdhsa_exception_fp_ieee_invalid_op 0
		.amdhsa_exception_fp_denorm_src 0
		.amdhsa_exception_fp_ieee_div_zero 0
		.amdhsa_exception_fp_ieee_overflow 0
		.amdhsa_exception_fp_ieee_underflow 0
		.amdhsa_exception_fp_ieee_inexact 0
		.amdhsa_exception_int_div_zero 0
	.end_amdhsa_kernel
	.section	.text._Z14sort_keys_fullILj32ELj32ELj1ELb0E12hip_bfloat16N10test_utils4lessEEvPT3_T4_,"axG",@progbits,_Z14sort_keys_fullILj32ELj32ELj1ELb0E12hip_bfloat16N10test_utils4lessEEvPT3_T4_,comdat
.Lfunc_end27:
	.size	_Z14sort_keys_fullILj32ELj32ELj1ELb0E12hip_bfloat16N10test_utils4lessEEvPT3_T4_, .Lfunc_end27-_Z14sort_keys_fullILj32ELj32ELj1ELb0E12hip_bfloat16N10test_utils4lessEEvPT3_T4_
                                        ; -- End function
	.section	.AMDGPU.csdata,"",@progbits
; Kernel info:
; codeLenInByte = 1468
; NumSgprs: 11
; NumVgprs: 17
; NumAgprs: 0
; TotalNumVgprs: 17
; ScratchSize: 0
; MemoryBound: 0
; FloatMode: 240
; IeeeMode: 1
; LDSByteSize: 66 bytes/workgroup (compile time only)
; SGPRBlocks: 1
; VGPRBlocks: 2
; NumSGPRsForWavesPerEU: 11
; NumVGPRsForWavesPerEU: 17
; AccumOffset: 20
; Occupancy: 8
; WaveLimiterHint : 0
; COMPUTE_PGM_RSRC2:SCRATCH_EN: 0
; COMPUTE_PGM_RSRC2:USER_SGPR: 6
; COMPUTE_PGM_RSRC2:TRAP_HANDLER: 0
; COMPUTE_PGM_RSRC2:TGID_X_EN: 1
; COMPUTE_PGM_RSRC2:TGID_Y_EN: 0
; COMPUTE_PGM_RSRC2:TGID_Z_EN: 0
; COMPUTE_PGM_RSRC2:TIDIG_COMP_CNT: 0
; COMPUTE_PGM_RSRC3_GFX90A:ACCUM_OFFSET: 4
; COMPUTE_PGM_RSRC3_GFX90A:TG_SPLIT: 0
	.section	.text._Z14sort_keys_fullILj32ELj32ELj1ELb0E6__halfN10test_utils4lessEEvPT3_T4_,"axG",@progbits,_Z14sort_keys_fullILj32ELj32ELj1ELb0E6__halfN10test_utils4lessEEvPT3_T4_,comdat
	.protected	_Z14sort_keys_fullILj32ELj32ELj1ELb0E6__halfN10test_utils4lessEEvPT3_T4_ ; -- Begin function _Z14sort_keys_fullILj32ELj32ELj1ELb0E6__halfN10test_utils4lessEEvPT3_T4_
	.globl	_Z14sort_keys_fullILj32ELj32ELj1ELb0E6__halfN10test_utils4lessEEvPT3_T4_
	.p2align	8
	.type	_Z14sort_keys_fullILj32ELj32ELj1ELb0E6__halfN10test_utils4lessEEvPT3_T4_,@function
_Z14sort_keys_fullILj32ELj32ELj1ELb0E6__halfN10test_utils4lessEEvPT3_T4_: ; @_Z14sort_keys_fullILj32ELj32ELj1ELb0E6__halfN10test_utils4lessEEvPT3_T4_
; %bb.0:
	s_load_dwordx2 s[0:1], s[4:5], 0x0
	s_lshl_b32 s2, s6, 5
	s_mov_b32 s3, 0
	s_lshl_b64 s[2:3], s[2:3], 1
	v_lshlrev_b32_e32 v0, 1, v0
	s_waitcnt lgkmcnt(0)
	s_add_u32 s0, s0, s2
	s_addc_u32 s1, s1, s3
	global_load_ushort v10, v0, s[0:1]
	v_mbcnt_lo_u32_b32 v1, -1, 0
	v_mbcnt_hi_u32_b32 v4, -1, v1
	v_and_b32_e32 v7, 30, v4
	v_or_b32_e32 v6, 1, v7
	v_sub_u32_e32 v8, v7, v6
	v_and_b32_e32 v5, 1, v4
	v_sub_u32_e32 v1, v6, v7
	v_add_u32_e32 v8, 2, v8
	v_and_b32_e32 v2, 31, v4
	v_min_i32_e32 v9, v5, v1
	v_sub_u32_e32 v1, v5, v8
	v_cmp_ge_i32_e32 vcc, v5, v8
	v_lshlrev_b32_e32 v3, 1, v2
	v_cndmask_b32_e32 v8, 0, v1, vcc
	v_mov_b32_e32 v1, s1
	v_add_co_u32_e64 v0, s[0:1], s0, v0
	; wave barrier
	v_cmp_lt_i32_e32 vcc, v8, v9
	v_addc_co_u32_e64 v1, s[0:1], 0, v1, s[0:1]
	s_waitcnt vmcnt(0)
	ds_write_b16 v3, v10
	v_lshlrev_b32_e32 v10, 1, v7
	; wave barrier
	s_and_saveexec_b64 s[0:1], vcc
	s_cbranch_execz .LBB28_4
; %bb.1:
	v_lshlrev_b32_e32 v11, 1, v5
	v_add3_u32 v11, v10, v11, 2
	s_mov_b64 s[2:3], 0
.LBB28_2:                               ; =>This Inner Loop Header: Depth=1
	v_sub_u32_e32 v12, v9, v8
	v_lshrrev_b32_e32 v13, 31, v12
	v_add_u32_e32 v12, v12, v13
	v_ashrrev_i32_e32 v12, 1, v12
	v_add_u32_e32 v12, v12, v8
	v_not_b32_e32 v14, v12
	v_lshl_add_u32 v13, v12, 1, v10
	v_lshl_add_u32 v14, v14, 1, v11
	ds_read_u16 v13, v13
	ds_read_u16 v14, v14
	v_add_u32_e32 v15, 1, v12
	s_waitcnt lgkmcnt(0)
	v_cmp_lt_f16_e32 vcc, v14, v13
	v_cndmask_b32_e32 v9, v9, v12, vcc
	v_cndmask_b32_e32 v8, v15, v8, vcc
	v_cmp_ge_i32_e32 vcc, v8, v9
	s_or_b64 s[2:3], vcc, s[2:3]
	s_andn2_b64 exec, exec, s[2:3]
	s_cbranch_execnz .LBB28_2
; %bb.3:
	s_or_b64 exec, exec, s[2:3]
.LBB28_4:
	s_or_b64 exec, exec, s[0:1]
	v_add_u32_e32 v7, v7, v5
	v_sub_u32_e32 v7, v7, v8
	v_lshl_add_u32 v9, v8, 1, v10
	v_lshlrev_b32_e32 v7, 1, v7
	ds_read_u16 v9, v9
	ds_read_u16 v7, v7 offset:2
	v_add_u32_e32 v5, v6, v5
	v_sub_u32_e32 v5, v5, v8
	v_cmp_lt_i32_e64 s[0:1], 0, v8
	v_cmp_ge_i32_e32 vcc, v6, v5
	s_waitcnt lgkmcnt(0)
	v_cmp_lt_f16_e64 s[2:3], v7, v9
	s_or_b64 s[0:1], s[0:1], s[2:3]
	s_and_b64 vcc, vcc, s[0:1]
	v_and_b32_e32 v8, 28, v4
	v_cndmask_b32_e32 v5, v9, v7, vcc
	v_or_b32_e32 v7, 2, v8
	v_add_u32_e32 v6, 4, v8
	; wave barrier
	ds_write_b16 v3, v5
	v_and_b32_e32 v5, 3, v4
	v_sub_u32_e32 v9, v6, v7
	v_sub_u32_e32 v10, v7, v8
	;; [unrolled: 1-line block ×3, first 2 shown]
	v_cmp_ge_i32_e32 vcc, v5, v9
	v_cndmask_b32_e32 v9, 0, v11, vcc
	v_min_i32_e32 v11, v5, v10
	v_cmp_lt_i32_e32 vcc, v9, v11
	v_lshlrev_b32_e32 v10, 1, v8
	; wave barrier
	s_and_saveexec_b64 s[0:1], vcc
	s_cbranch_execz .LBB28_8
; %bb.5:
	v_lshlrev_b32_e32 v12, 1, v5
	v_add3_u32 v12, v10, v12, 4
	s_mov_b64 s[2:3], 0
.LBB28_6:                               ; =>This Inner Loop Header: Depth=1
	v_sub_u32_e32 v13, v11, v9
	v_lshrrev_b32_e32 v14, 31, v13
	v_add_u32_e32 v13, v13, v14
	v_ashrrev_i32_e32 v13, 1, v13
	v_add_u32_e32 v13, v13, v9
	v_not_b32_e32 v15, v13
	v_lshl_add_u32 v14, v13, 1, v10
	v_lshl_add_u32 v15, v15, 1, v12
	ds_read_u16 v14, v14
	ds_read_u16 v15, v15
	v_add_u32_e32 v16, 1, v13
	s_waitcnt lgkmcnt(0)
	v_cmp_lt_f16_e32 vcc, v15, v14
	v_cndmask_b32_e32 v11, v11, v13, vcc
	v_cndmask_b32_e32 v9, v16, v9, vcc
	v_cmp_ge_i32_e32 vcc, v9, v11
	s_or_b64 s[2:3], vcc, s[2:3]
	s_andn2_b64 exec, exec, s[2:3]
	s_cbranch_execnz .LBB28_6
; %bb.7:
	s_or_b64 exec, exec, s[2:3]
.LBB28_8:
	s_or_b64 exec, exec, s[0:1]
	v_add_u32_e32 v8, v8, v5
	v_sub_u32_e32 v8, v8, v9
	v_lshl_add_u32 v10, v9, 1, v10
	v_lshlrev_b32_e32 v8, 1, v8
	ds_read_u16 v10, v10
	ds_read_u16 v8, v8 offset:4
	v_add_u32_e32 v5, v7, v5
	v_sub_u32_e32 v5, v5, v9
	v_cmp_lt_i32_e64 s[0:1], 1, v9
	v_cmp_gt_i32_e32 vcc, v6, v5
	s_waitcnt lgkmcnt(0)
	v_cmp_lt_f16_e64 s[2:3], v8, v10
	s_or_b64 s[0:1], s[0:1], s[2:3]
	s_and_b64 vcc, vcc, s[0:1]
	v_cndmask_b32_e32 v5, v10, v8, vcc
	v_and_b32_e32 v8, 24, v4
	v_or_b32_e32 v7, 4, v8
	v_add_u32_e32 v6, 8, v8
	; wave barrier
	ds_write_b16 v3, v5
	v_and_b32_e32 v5, 7, v4
	v_sub_u32_e32 v9, v6, v7
	v_sub_u32_e32 v10, v7, v8
	;; [unrolled: 1-line block ×3, first 2 shown]
	v_cmp_ge_i32_e32 vcc, v5, v9
	v_cndmask_b32_e32 v9, 0, v11, vcc
	v_min_i32_e32 v11, v5, v10
	v_cmp_lt_i32_e32 vcc, v9, v11
	v_lshlrev_b32_e32 v10, 1, v8
	; wave barrier
	s_and_saveexec_b64 s[0:1], vcc
	s_cbranch_execz .LBB28_12
; %bb.9:
	v_lshlrev_b32_e32 v12, 1, v5
	v_add3_u32 v12, v10, v12, 8
	s_mov_b64 s[2:3], 0
.LBB28_10:                              ; =>This Inner Loop Header: Depth=1
	v_sub_u32_e32 v13, v11, v9
	v_lshrrev_b32_e32 v14, 31, v13
	v_add_u32_e32 v13, v13, v14
	v_ashrrev_i32_e32 v13, 1, v13
	v_add_u32_e32 v13, v13, v9
	v_not_b32_e32 v15, v13
	v_lshl_add_u32 v14, v13, 1, v10
	v_lshl_add_u32 v15, v15, 1, v12
	ds_read_u16 v14, v14
	ds_read_u16 v15, v15
	v_add_u32_e32 v16, 1, v13
	s_waitcnt lgkmcnt(0)
	v_cmp_lt_f16_e32 vcc, v15, v14
	v_cndmask_b32_e32 v11, v11, v13, vcc
	v_cndmask_b32_e32 v9, v16, v9, vcc
	v_cmp_ge_i32_e32 vcc, v9, v11
	s_or_b64 s[2:3], vcc, s[2:3]
	s_andn2_b64 exec, exec, s[2:3]
	s_cbranch_execnz .LBB28_10
; %bb.11:
	s_or_b64 exec, exec, s[2:3]
.LBB28_12:
	s_or_b64 exec, exec, s[0:1]
	v_add_u32_e32 v8, v8, v5
	v_sub_u32_e32 v8, v8, v9
	v_lshl_add_u32 v10, v9, 1, v10
	v_lshlrev_b32_e32 v8, 1, v8
	ds_read_u16 v10, v10
	ds_read_u16 v8, v8 offset:8
	v_add_u32_e32 v5, v7, v5
	v_sub_u32_e32 v5, v5, v9
	v_cmp_lt_i32_e64 s[0:1], 3, v9
	v_cmp_gt_i32_e32 vcc, v6, v5
	s_waitcnt lgkmcnt(0)
	v_cmp_lt_f16_e64 s[2:3], v8, v10
	s_or_b64 s[0:1], s[0:1], s[2:3]
	s_and_b64 vcc, vcc, s[0:1]
	v_cndmask_b32_e32 v5, v10, v8, vcc
	v_and_b32_e32 v7, 16, v4
	; wave barrier
	ds_write_b16 v3, v5
	v_or_b32_e32 v6, 8, v7
	v_add_u32_e32 v5, 16, v7
	v_and_b32_e32 v4, 15, v4
	v_sub_u32_e32 v8, v5, v6
	v_sub_u32_e32 v9, v6, v7
	v_sub_u32_e32 v10, v4, v8
	v_cmp_ge_i32_e32 vcc, v4, v8
	v_cndmask_b32_e32 v8, 0, v10, vcc
	v_min_i32_e32 v10, v4, v9
	v_cmp_lt_i32_e32 vcc, v8, v10
	v_lshlrev_b32_e32 v9, 1, v7
	; wave barrier
	s_and_saveexec_b64 s[0:1], vcc
	s_cbranch_execz .LBB28_16
; %bb.13:
	v_lshlrev_b32_e32 v11, 1, v4
	v_add3_u32 v11, v9, v11, 16
	s_mov_b64 s[2:3], 0
.LBB28_14:                              ; =>This Inner Loop Header: Depth=1
	v_sub_u32_e32 v12, v10, v8
	v_lshrrev_b32_e32 v13, 31, v12
	v_add_u32_e32 v12, v12, v13
	v_ashrrev_i32_e32 v12, 1, v12
	v_add_u32_e32 v12, v12, v8
	v_not_b32_e32 v14, v12
	v_lshl_add_u32 v13, v12, 1, v9
	v_lshl_add_u32 v14, v14, 1, v11
	ds_read_u16 v13, v13
	ds_read_u16 v14, v14
	v_add_u32_e32 v15, 1, v12
	s_waitcnt lgkmcnt(0)
	v_cmp_lt_f16_e32 vcc, v14, v13
	v_cndmask_b32_e32 v10, v10, v12, vcc
	v_cndmask_b32_e32 v8, v15, v8, vcc
	v_cmp_ge_i32_e32 vcc, v8, v10
	s_or_b64 s[2:3], vcc, s[2:3]
	s_andn2_b64 exec, exec, s[2:3]
	s_cbranch_execnz .LBB28_14
; %bb.15:
	s_or_b64 exec, exec, s[2:3]
.LBB28_16:
	s_or_b64 exec, exec, s[0:1]
	v_add_u32_e32 v7, v7, v4
	v_sub_u32_e32 v7, v7, v8
	v_lshl_add_u32 v9, v8, 1, v9
	v_lshlrev_b32_e32 v7, 1, v7
	ds_read_u16 v9, v9
	ds_read_u16 v7, v7 offset:16
	v_add_u32_e32 v4, v6, v4
	v_sub_u32_e32 v4, v4, v8
	v_cmp_lt_i32_e64 s[0:1], 7, v8
	v_cmp_gt_i32_e32 vcc, v5, v4
	s_waitcnt lgkmcnt(0)
	v_cmp_lt_f16_e64 s[2:3], v7, v9
	s_or_b64 s[0:1], s[0:1], s[2:3]
	s_and_b64 vcc, vcc, s[0:1]
	v_cndmask_b32_e32 v4, v9, v7, vcc
	; wave barrier
	ds_write_b16 v3, v4
	v_sub_u32_e64 v4, v2, 16 clamp
	v_min_i32_e32 v5, 16, v2
	v_cmp_lt_u32_e32 vcc, v4, v5
	; wave barrier
	s_and_saveexec_b64 s[0:1], vcc
	s_cbranch_execz .LBB28_20
; %bb.17:
	v_add_u32_e32 v3, 32, v3
	s_mov_b64 s[2:3], 0
.LBB28_18:                              ; =>This Inner Loop Header: Depth=1
	v_sub_u32_e32 v6, v5, v4
	v_lshrrev_b32_e32 v7, 31, v6
	v_add_u32_e32 v6, v6, v7
	v_ashrrev_i32_e32 v6, 1, v6
	v_add_u32_e32 v6, v6, v4
	v_not_b32_e32 v8, v6
	v_lshlrev_b32_e32 v7, 1, v6
	v_lshl_add_u32 v8, v8, 1, v3
	ds_read_u16 v7, v7
	ds_read_u16 v8, v8
	v_add_u32_e32 v9, 1, v6
	s_waitcnt lgkmcnt(0)
	v_cmp_lt_f16_e32 vcc, v8, v7
	v_cndmask_b32_e32 v5, v5, v6, vcc
	v_cndmask_b32_e32 v4, v9, v4, vcc
	v_cmp_ge_i32_e32 vcc, v4, v5
	s_or_b64 s[2:3], vcc, s[2:3]
	s_andn2_b64 exec, exec, s[2:3]
	s_cbranch_execnz .LBB28_18
; %bb.19:
	s_or_b64 exec, exec, s[2:3]
.LBB28_20:
	s_or_b64 exec, exec, s[0:1]
	v_sub_u32_e32 v2, v2, v4
	v_lshlrev_b32_e32 v3, 1, v4
	v_lshlrev_b32_e32 v5, 1, v2
	ds_read_u16 v3, v3
	ds_read_u16 v5, v5 offset:32
	v_add_u32_e32 v2, 16, v2
	v_cmp_lt_i32_e64 s[0:1], 15, v4
	v_cmp_gt_i32_e32 vcc, 32, v2
	s_waitcnt lgkmcnt(0)
	v_cmp_lt_f16_e64 s[2:3], v5, v3
	s_or_b64 s[0:1], s[0:1], s[2:3]
	s_and_b64 vcc, vcc, s[0:1]
	v_cndmask_b32_e32 v2, v3, v5, vcc
	global_store_short v[0:1], v2, off
	s_endpgm
	.section	.rodata,"a",@progbits
	.p2align	6, 0x0
	.amdhsa_kernel _Z14sort_keys_fullILj32ELj32ELj1ELb0E6__halfN10test_utils4lessEEvPT3_T4_
		.amdhsa_group_segment_fixed_size 66
		.amdhsa_private_segment_fixed_size 0
		.amdhsa_kernarg_size 12
		.amdhsa_user_sgpr_count 6
		.amdhsa_user_sgpr_private_segment_buffer 1
		.amdhsa_user_sgpr_dispatch_ptr 0
		.amdhsa_user_sgpr_queue_ptr 0
		.amdhsa_user_sgpr_kernarg_segment_ptr 1
		.amdhsa_user_sgpr_dispatch_id 0
		.amdhsa_user_sgpr_flat_scratch_init 0
		.amdhsa_user_sgpr_kernarg_preload_length 0
		.amdhsa_user_sgpr_kernarg_preload_offset 0
		.amdhsa_user_sgpr_private_segment_size 0
		.amdhsa_uses_dynamic_stack 0
		.amdhsa_system_sgpr_private_segment_wavefront_offset 0
		.amdhsa_system_sgpr_workgroup_id_x 1
		.amdhsa_system_sgpr_workgroup_id_y 0
		.amdhsa_system_sgpr_workgroup_id_z 0
		.amdhsa_system_sgpr_workgroup_info 0
		.amdhsa_system_vgpr_workitem_id 0
		.amdhsa_next_free_vgpr 17
		.amdhsa_next_free_sgpr 7
		.amdhsa_accum_offset 20
		.amdhsa_reserve_vcc 1
		.amdhsa_reserve_flat_scratch 0
		.amdhsa_float_round_mode_32 0
		.amdhsa_float_round_mode_16_64 0
		.amdhsa_float_denorm_mode_32 3
		.amdhsa_float_denorm_mode_16_64 3
		.amdhsa_dx10_clamp 1
		.amdhsa_ieee_mode 1
		.amdhsa_fp16_overflow 0
		.amdhsa_tg_split 0
		.amdhsa_exception_fp_ieee_invalid_op 0
		.amdhsa_exception_fp_denorm_src 0
		.amdhsa_exception_fp_ieee_div_zero 0
		.amdhsa_exception_fp_ieee_overflow 0
		.amdhsa_exception_fp_ieee_underflow 0
		.amdhsa_exception_fp_ieee_inexact 0
		.amdhsa_exception_int_div_zero 0
	.end_amdhsa_kernel
	.section	.text._Z14sort_keys_fullILj32ELj32ELj1ELb0E6__halfN10test_utils4lessEEvPT3_T4_,"axG",@progbits,_Z14sort_keys_fullILj32ELj32ELj1ELb0E6__halfN10test_utils4lessEEvPT3_T4_,comdat
.Lfunc_end28:
	.size	_Z14sort_keys_fullILj32ELj32ELj1ELb0E6__halfN10test_utils4lessEEvPT3_T4_, .Lfunc_end28-_Z14sort_keys_fullILj32ELj32ELj1ELb0E6__halfN10test_utils4lessEEvPT3_T4_
                                        ; -- End function
	.section	.AMDGPU.csdata,"",@progbits
; Kernel info:
; codeLenInByte = 1348
; NumSgprs: 11
; NumVgprs: 17
; NumAgprs: 0
; TotalNumVgprs: 17
; ScratchSize: 0
; MemoryBound: 0
; FloatMode: 240
; IeeeMode: 1
; LDSByteSize: 66 bytes/workgroup (compile time only)
; SGPRBlocks: 1
; VGPRBlocks: 2
; NumSGPRsForWavesPerEU: 11
; NumVGPRsForWavesPerEU: 17
; AccumOffset: 20
; Occupancy: 8
; WaveLimiterHint : 0
; COMPUTE_PGM_RSRC2:SCRATCH_EN: 0
; COMPUTE_PGM_RSRC2:USER_SGPR: 6
; COMPUTE_PGM_RSRC2:TRAP_HANDLER: 0
; COMPUTE_PGM_RSRC2:TGID_X_EN: 1
; COMPUTE_PGM_RSRC2:TGID_Y_EN: 0
; COMPUTE_PGM_RSRC2:TGID_Z_EN: 0
; COMPUTE_PGM_RSRC2:TIDIG_COMP_CNT: 0
; COMPUTE_PGM_RSRC3_GFX90A:ACCUM_OFFSET: 4
; COMPUTE_PGM_RSRC3_GFX90A:TG_SPLIT: 0
	.section	.text._Z14sort_keys_fullILj512ELj64ELj1ELb0EsN10test_utils4lessEEvPT3_T4_,"axG",@progbits,_Z14sort_keys_fullILj512ELj64ELj1ELb0EsN10test_utils4lessEEvPT3_T4_,comdat
	.protected	_Z14sort_keys_fullILj512ELj64ELj1ELb0EsN10test_utils4lessEEvPT3_T4_ ; -- Begin function _Z14sort_keys_fullILj512ELj64ELj1ELb0EsN10test_utils4lessEEvPT3_T4_
	.globl	_Z14sort_keys_fullILj512ELj64ELj1ELb0EsN10test_utils4lessEEvPT3_T4_
	.p2align	8
	.type	_Z14sort_keys_fullILj512ELj64ELj1ELb0EsN10test_utils4lessEEvPT3_T4_,@function
_Z14sort_keys_fullILj512ELj64ELj1ELb0EsN10test_utils4lessEEvPT3_T4_: ; @_Z14sort_keys_fullILj512ELj64ELj1ELb0EsN10test_utils4lessEEvPT3_T4_
; %bb.0:
	s_load_dwordx2 s[0:1], s[4:5], 0x0
	s_lshl_b32 s2, s6, 9
	s_mov_b32 s3, 0
	s_lshl_b64 s[2:3], s[2:3], 1
	v_lshlrev_b32_e32 v1, 1, v0
	s_waitcnt lgkmcnt(0)
	s_add_u32 s0, s0, s2
	s_addc_u32 s1, s1, s3
	global_load_ushort v12, v1, s[0:1]
	v_mbcnt_lo_u32_b32 v2, -1, 0
	v_mbcnt_hi_u32_b32 v3, -1, v2
	v_and_b32_e32 v5, 0x7e, v3
	v_min_i32_e32 v5, 64, v5
	v_or_b32_e32 v8, 1, v5
	s_movk_i32 s2, 0x82
	v_lshrrev_b32_e32 v0, 6, v0
	v_lshlrev_b32_e32 v4, 1, v3
	v_lshlrev_b32_e32 v9, 1, v5
	v_min_i32_e32 v7, 64, v8
	v_mul_u32_u24_e32 v2, 0x82, v0
	v_and_b32_e32 v6, 1, v3
	v_mad_u32_u24 v4, v0, s2, v4
	v_min_i32_e32 v8, 63, v8
	v_mad_u32_u24 v9, v0, s2, v9
	v_sub_u32_e32 v0, v7, v5
	v_sub_u32_e32 v10, v8, v7
	v_min_i32_e32 v11, v6, v0
	v_mov_b32_e32 v13, s1
	v_add_co_u32_e32 v0, vcc, s0, v1
	v_add_u32_e32 v10, 1, v10
	v_addc_co_u32_e32 v1, vcc, 0, v13, vcc
	v_sub_u32_e32 v14, v6, v10
	v_cmp_ge_i32_e32 vcc, v6, v10
	v_cndmask_b32_e32 v10, 0, v14, vcc
	v_cmp_lt_i32_e32 vcc, v10, v11
	; wave barrier
	s_waitcnt vmcnt(0)
	ds_write_b16 v4, v12
	; wave barrier
	s_and_saveexec_b64 s[0:1], vcc
	s_cbranch_execz .LBB29_4
; %bb.1:
	v_lshlrev_b32_e32 v12, 1, v7
	v_lshlrev_b32_e32 v13, 1, v6
	v_add3_u32 v12, v2, v12, v13
	s_mov_b64 s[2:3], 0
.LBB29_2:                               ; =>This Inner Loop Header: Depth=1
	v_sub_u32_e32 v13, v11, v10
	v_lshrrev_b32_e32 v14, 31, v13
	v_add_u32_e32 v13, v13, v14
	v_ashrrev_i32_e32 v13, 1, v13
	v_add_u32_e32 v13, v13, v10
	v_not_b32_e32 v15, v13
	v_lshl_add_u32 v14, v13, 1, v9
	v_lshl_add_u32 v15, v15, 1, v12
	ds_read_u16 v14, v14
	ds_read_u16 v15, v15
	v_add_u32_e32 v16, 1, v13
	s_waitcnt lgkmcnt(0)
	v_cmp_lt_i16_e32 vcc, v15, v14
	v_cndmask_b32_e32 v11, v11, v13, vcc
	v_cndmask_b32_e32 v10, v16, v10, vcc
	v_cmp_ge_i32_e32 vcc, v10, v11
	s_or_b64 s[2:3], vcc, s[2:3]
	s_andn2_b64 exec, exec, s[2:3]
	s_cbranch_execnz .LBB29_2
; %bb.3:
	s_or_b64 exec, exec, s[2:3]
.LBB29_4:
	s_or_b64 exec, exec, s[0:1]
	v_add_u32_e32 v6, v7, v6
	v_sub_u32_e32 v6, v6, v10
	v_lshl_add_u32 v9, v10, 1, v9
	v_lshl_add_u32 v11, v6, 1, v2
	ds_read_u16 v9, v9
	ds_read_u16 v11, v11
	v_add_u32_e32 v5, v10, v5
	v_cmp_le_i32_e64 s[0:1], v7, v5
	v_cmp_ge_i32_e32 vcc, v8, v6
	s_waitcnt lgkmcnt(0)
	v_cmp_lt_i16_e64 s[2:3], v11, v9
	s_or_b64 s[0:1], s[0:1], s[2:3]
	s_and_b64 vcc, vcc, s[0:1]
	v_cndmask_b32_e32 v5, v9, v11, vcc
	; wave barrier
	ds_write_b16 v4, v5
	v_and_b32_e32 v5, 0x7c, v3
	v_min_i32_e32 v5, 64, v5
	v_or_b32_e32 v7, 2, v5
	v_min_i32_e32 v6, 64, v7
	v_min_i32_e32 v7, 62, v7
	v_add_u32_e32 v7, 2, v7
	v_and_b32_e32 v8, 3, v3
	v_sub_u32_e32 v9, v7, v6
	v_sub_u32_e32 v11, v6, v5
	;; [unrolled: 1-line block ×3, first 2 shown]
	v_cmp_ge_i32_e32 vcc, v8, v9
	v_cndmask_b32_e32 v9, 0, v12, vcc
	v_min_i32_e32 v11, v8, v11
	v_lshl_add_u32 v10, v5, 1, v2
	v_cmp_lt_i32_e32 vcc, v9, v11
	; wave barrier
	s_and_saveexec_b64 s[0:1], vcc
	s_cbranch_execz .LBB29_8
; %bb.5:
	v_lshlrev_b32_e32 v12, 1, v6
	v_lshlrev_b32_e32 v13, 1, v8
	v_add3_u32 v12, v2, v12, v13
	s_mov_b64 s[2:3], 0
.LBB29_6:                               ; =>This Inner Loop Header: Depth=1
	v_sub_u32_e32 v13, v11, v9
	v_lshrrev_b32_e32 v14, 31, v13
	v_add_u32_e32 v13, v13, v14
	v_ashrrev_i32_e32 v13, 1, v13
	v_add_u32_e32 v13, v13, v9
	v_not_b32_e32 v15, v13
	v_lshl_add_u32 v14, v13, 1, v10
	v_lshl_add_u32 v15, v15, 1, v12
	ds_read_u16 v14, v14
	ds_read_u16 v15, v15
	v_add_u32_e32 v16, 1, v13
	s_waitcnt lgkmcnt(0)
	v_cmp_lt_i16_e32 vcc, v15, v14
	v_cndmask_b32_e32 v11, v11, v13, vcc
	v_cndmask_b32_e32 v9, v16, v9, vcc
	v_cmp_ge_i32_e32 vcc, v9, v11
	s_or_b64 s[2:3], vcc, s[2:3]
	s_andn2_b64 exec, exec, s[2:3]
	s_cbranch_execnz .LBB29_6
; %bb.7:
	s_or_b64 exec, exec, s[2:3]
.LBB29_8:
	s_or_b64 exec, exec, s[0:1]
	v_add_u32_e32 v8, v6, v8
	v_sub_u32_e32 v8, v8, v9
	v_lshl_add_u32 v10, v9, 1, v10
	v_lshl_add_u32 v11, v8, 1, v2
	ds_read_u16 v10, v10
	ds_read_u16 v11, v11
	v_add_u32_e32 v5, v9, v5
	v_cmp_le_i32_e64 s[0:1], v6, v5
	v_cmp_gt_i32_e32 vcc, v7, v8
	s_waitcnt lgkmcnt(0)
	v_cmp_lt_i16_e64 s[2:3], v11, v10
	s_or_b64 s[0:1], s[0:1], s[2:3]
	s_and_b64 vcc, vcc, s[0:1]
	v_cndmask_b32_e32 v5, v10, v11, vcc
	; wave barrier
	ds_write_b16 v4, v5
	v_and_b32_e32 v5, 0x78, v3
	v_min_i32_e32 v5, 64, v5
	v_or_b32_e32 v7, 4, v5
	v_min_i32_e32 v6, 64, v7
	v_min_i32_e32 v7, 60, v7
	v_add_u32_e32 v7, 4, v7
	v_and_b32_e32 v8, 7, v3
	v_sub_u32_e32 v9, v7, v6
	v_sub_u32_e32 v11, v6, v5
	v_sub_u32_e32 v12, v8, v9
	v_cmp_ge_i32_e32 vcc, v8, v9
	v_cndmask_b32_e32 v9, 0, v12, vcc
	v_min_i32_e32 v11, v8, v11
	v_lshl_add_u32 v10, v5, 1, v2
	v_cmp_lt_i32_e32 vcc, v9, v11
	; wave barrier
	s_and_saveexec_b64 s[0:1], vcc
	s_cbranch_execz .LBB29_12
; %bb.9:
	v_lshlrev_b32_e32 v12, 1, v6
	v_lshlrev_b32_e32 v13, 1, v8
	v_add3_u32 v12, v2, v12, v13
	s_mov_b64 s[2:3], 0
.LBB29_10:                              ; =>This Inner Loop Header: Depth=1
	v_sub_u32_e32 v13, v11, v9
	v_lshrrev_b32_e32 v14, 31, v13
	v_add_u32_e32 v13, v13, v14
	v_ashrrev_i32_e32 v13, 1, v13
	v_add_u32_e32 v13, v13, v9
	v_not_b32_e32 v15, v13
	v_lshl_add_u32 v14, v13, 1, v10
	v_lshl_add_u32 v15, v15, 1, v12
	ds_read_u16 v14, v14
	ds_read_u16 v15, v15
	v_add_u32_e32 v16, 1, v13
	s_waitcnt lgkmcnt(0)
	v_cmp_lt_i16_e32 vcc, v15, v14
	v_cndmask_b32_e32 v11, v11, v13, vcc
	v_cndmask_b32_e32 v9, v16, v9, vcc
	v_cmp_ge_i32_e32 vcc, v9, v11
	s_or_b64 s[2:3], vcc, s[2:3]
	s_andn2_b64 exec, exec, s[2:3]
	s_cbranch_execnz .LBB29_10
; %bb.11:
	s_or_b64 exec, exec, s[2:3]
.LBB29_12:
	s_or_b64 exec, exec, s[0:1]
	v_add_u32_e32 v8, v6, v8
	v_sub_u32_e32 v8, v8, v9
	v_lshl_add_u32 v10, v9, 1, v10
	v_lshl_add_u32 v11, v8, 1, v2
	ds_read_u16 v10, v10
	ds_read_u16 v11, v11
	v_add_u32_e32 v5, v9, v5
	v_cmp_le_i32_e64 s[0:1], v6, v5
	v_cmp_gt_i32_e32 vcc, v7, v8
	s_waitcnt lgkmcnt(0)
	v_cmp_lt_i16_e64 s[2:3], v11, v10
	s_or_b64 s[0:1], s[0:1], s[2:3]
	s_and_b64 vcc, vcc, s[0:1]
	v_cndmask_b32_e32 v5, v10, v11, vcc
	; wave barrier
	ds_write_b16 v4, v5
	v_and_b32_e32 v5, 0x70, v3
	v_min_i32_e32 v5, 64, v5
	v_or_b32_e32 v7, 8, v5
	v_min_i32_e32 v6, 64, v7
	v_min_i32_e32 v7, 56, v7
	v_add_u32_e32 v7, 8, v7
	v_and_b32_e32 v8, 15, v3
	v_sub_u32_e32 v9, v7, v6
	v_sub_u32_e32 v11, v6, v5
	v_sub_u32_e32 v12, v8, v9
	v_cmp_ge_i32_e32 vcc, v8, v9
	v_cndmask_b32_e32 v9, 0, v12, vcc
	v_min_i32_e32 v11, v8, v11
	v_lshl_add_u32 v10, v5, 1, v2
	v_cmp_lt_i32_e32 vcc, v9, v11
	; wave barrier
	s_and_saveexec_b64 s[0:1], vcc
	s_cbranch_execz .LBB29_16
; %bb.13:
	v_lshlrev_b32_e32 v12, 1, v6
	v_lshlrev_b32_e32 v13, 1, v8
	v_add3_u32 v12, v2, v12, v13
	s_mov_b64 s[2:3], 0
.LBB29_14:                              ; =>This Inner Loop Header: Depth=1
	v_sub_u32_e32 v13, v11, v9
	v_lshrrev_b32_e32 v14, 31, v13
	v_add_u32_e32 v13, v13, v14
	v_ashrrev_i32_e32 v13, 1, v13
	v_add_u32_e32 v13, v13, v9
	v_not_b32_e32 v15, v13
	v_lshl_add_u32 v14, v13, 1, v10
	v_lshl_add_u32 v15, v15, 1, v12
	ds_read_u16 v14, v14
	ds_read_u16 v15, v15
	v_add_u32_e32 v16, 1, v13
	s_waitcnt lgkmcnt(0)
	v_cmp_lt_i16_e32 vcc, v15, v14
	v_cndmask_b32_e32 v11, v11, v13, vcc
	v_cndmask_b32_e32 v9, v16, v9, vcc
	v_cmp_ge_i32_e32 vcc, v9, v11
	s_or_b64 s[2:3], vcc, s[2:3]
	s_andn2_b64 exec, exec, s[2:3]
	s_cbranch_execnz .LBB29_14
; %bb.15:
	s_or_b64 exec, exec, s[2:3]
.LBB29_16:
	;; [unrolled: 63-line block ×3, first 2 shown]
	s_or_b64 exec, exec, s[0:1]
	v_add_u32_e32 v8, v6, v8
	v_sub_u32_e32 v8, v8, v9
	v_lshl_add_u32 v10, v9, 1, v10
	v_lshl_add_u32 v11, v8, 1, v2
	ds_read_u16 v10, v10
	ds_read_u16 v11, v11
	v_add_u32_e32 v5, v9, v5
	v_cmp_le_i32_e64 s[0:1], v6, v5
	v_cmp_gt_i32_e32 vcc, v7, v8
	s_waitcnt lgkmcnt(0)
	v_cmp_lt_i16_e64 s[2:3], v11, v10
	s_or_b64 s[0:1], s[0:1], s[2:3]
	s_and_b64 vcc, vcc, s[0:1]
	v_cndmask_b32_e32 v5, v10, v11, vcc
	; wave barrier
	ds_write_b16 v4, v5
	v_and_b32_e32 v4, 64, v3
	v_and_b32_e32 v5, 63, v3
	v_or_b32_e32 v3, 32, v4
	v_min_i32_e32 v3, 64, v3
	v_sub_u32_e32 v6, 64, v3
	v_sub_u32_e32 v8, v3, v4
	;; [unrolled: 1-line block ×3, first 2 shown]
	v_cmp_ge_i32_e32 vcc, v5, v6
	v_cndmask_b32_e32 v6, 0, v9, vcc
	v_min_i32_e32 v8, v5, v8
	v_lshl_add_u32 v7, v4, 1, v2
	v_cmp_lt_i32_e32 vcc, v6, v8
	; wave barrier
	s_and_saveexec_b64 s[0:1], vcc
	s_cbranch_execz .LBB29_24
; %bb.21:
	v_lshlrev_b32_e32 v9, 1, v3
	v_lshlrev_b32_e32 v10, 1, v5
	v_add3_u32 v9, v2, v9, v10
	s_mov_b64 s[2:3], 0
.LBB29_22:                              ; =>This Inner Loop Header: Depth=1
	v_sub_u32_e32 v10, v8, v6
	v_lshrrev_b32_e32 v11, 31, v10
	v_add_u32_e32 v10, v10, v11
	v_ashrrev_i32_e32 v10, 1, v10
	v_add_u32_e32 v10, v10, v6
	v_not_b32_e32 v12, v10
	v_lshl_add_u32 v11, v10, 1, v7
	v_lshl_add_u32 v12, v12, 1, v9
	ds_read_u16 v11, v11
	ds_read_u16 v12, v12
	v_add_u32_e32 v13, 1, v10
	s_waitcnt lgkmcnt(0)
	v_cmp_lt_i16_e32 vcc, v12, v11
	v_cndmask_b32_e32 v8, v8, v10, vcc
	v_cndmask_b32_e32 v6, v13, v6, vcc
	v_cmp_ge_i32_e32 vcc, v6, v8
	s_or_b64 s[2:3], vcc, s[2:3]
	s_andn2_b64 exec, exec, s[2:3]
	s_cbranch_execnz .LBB29_22
; %bb.23:
	s_or_b64 exec, exec, s[2:3]
.LBB29_24:
	s_or_b64 exec, exec, s[0:1]
	v_add_u32_e32 v5, v3, v5
	v_sub_u32_e32 v5, v5, v6
	v_lshl_add_u32 v7, v6, 1, v7
	v_lshl_add_u32 v2, v5, 1, v2
	ds_read_u16 v7, v7
	ds_read_u16 v2, v2
	v_add_u32_e32 v4, v6, v4
	v_cmp_le_i32_e64 s[0:1], v3, v4
	v_cmp_gt_i32_e32 vcc, 64, v5
	s_waitcnt lgkmcnt(0)
	v_cmp_lt_i16_e64 s[2:3], v2, v7
	s_or_b64 s[0:1], s[0:1], s[2:3]
	s_and_b64 vcc, vcc, s[0:1]
	v_cndmask_b32_e32 v2, v7, v2, vcc
	global_store_short v[0:1], v2, off
	s_endpgm
	.section	.rodata,"a",@progbits
	.p2align	6, 0x0
	.amdhsa_kernel _Z14sort_keys_fullILj512ELj64ELj1ELb0EsN10test_utils4lessEEvPT3_T4_
		.amdhsa_group_segment_fixed_size 1040
		.amdhsa_private_segment_fixed_size 0
		.amdhsa_kernarg_size 12
		.amdhsa_user_sgpr_count 6
		.amdhsa_user_sgpr_private_segment_buffer 1
		.amdhsa_user_sgpr_dispatch_ptr 0
		.amdhsa_user_sgpr_queue_ptr 0
		.amdhsa_user_sgpr_kernarg_segment_ptr 1
		.amdhsa_user_sgpr_dispatch_id 0
		.amdhsa_user_sgpr_flat_scratch_init 0
		.amdhsa_user_sgpr_kernarg_preload_length 0
		.amdhsa_user_sgpr_kernarg_preload_offset 0
		.amdhsa_user_sgpr_private_segment_size 0
		.amdhsa_uses_dynamic_stack 0
		.amdhsa_system_sgpr_private_segment_wavefront_offset 0
		.amdhsa_system_sgpr_workgroup_id_x 1
		.amdhsa_system_sgpr_workgroup_id_y 0
		.amdhsa_system_sgpr_workgroup_id_z 0
		.amdhsa_system_sgpr_workgroup_info 0
		.amdhsa_system_vgpr_workitem_id 0
		.amdhsa_next_free_vgpr 17
		.amdhsa_next_free_sgpr 7
		.amdhsa_accum_offset 20
		.amdhsa_reserve_vcc 1
		.amdhsa_reserve_flat_scratch 0
		.amdhsa_float_round_mode_32 0
		.amdhsa_float_round_mode_16_64 0
		.amdhsa_float_denorm_mode_32 3
		.amdhsa_float_denorm_mode_16_64 3
		.amdhsa_dx10_clamp 1
		.amdhsa_ieee_mode 1
		.amdhsa_fp16_overflow 0
		.amdhsa_tg_split 0
		.amdhsa_exception_fp_ieee_invalid_op 0
		.amdhsa_exception_fp_denorm_src 0
		.amdhsa_exception_fp_ieee_div_zero 0
		.amdhsa_exception_fp_ieee_overflow 0
		.amdhsa_exception_fp_ieee_underflow 0
		.amdhsa_exception_fp_ieee_inexact 0
		.amdhsa_exception_int_div_zero 0
	.end_amdhsa_kernel
	.section	.text._Z14sort_keys_fullILj512ELj64ELj1ELb0EsN10test_utils4lessEEvPT3_T4_,"axG",@progbits,_Z14sort_keys_fullILj512ELj64ELj1ELb0EsN10test_utils4lessEEvPT3_T4_,comdat
.Lfunc_end29:
	.size	_Z14sort_keys_fullILj512ELj64ELj1ELb0EsN10test_utils4lessEEvPT3_T4_, .Lfunc_end29-_Z14sort_keys_fullILj512ELj64ELj1ELb0EsN10test_utils4lessEEvPT3_T4_
                                        ; -- End function
	.section	.AMDGPU.csdata,"",@progbits
; Kernel info:
; codeLenInByte = 1808
; NumSgprs: 11
; NumVgprs: 17
; NumAgprs: 0
; TotalNumVgprs: 17
; ScratchSize: 0
; MemoryBound: 0
; FloatMode: 240
; IeeeMode: 1
; LDSByteSize: 1040 bytes/workgroup (compile time only)
; SGPRBlocks: 1
; VGPRBlocks: 2
; NumSGPRsForWavesPerEU: 11
; NumVGPRsForWavesPerEU: 17
; AccumOffset: 20
; Occupancy: 8
; WaveLimiterHint : 0
; COMPUTE_PGM_RSRC2:SCRATCH_EN: 0
; COMPUTE_PGM_RSRC2:USER_SGPR: 6
; COMPUTE_PGM_RSRC2:TRAP_HANDLER: 0
; COMPUTE_PGM_RSRC2:TGID_X_EN: 1
; COMPUTE_PGM_RSRC2:TGID_Y_EN: 0
; COMPUTE_PGM_RSRC2:TGID_Z_EN: 0
; COMPUTE_PGM_RSRC2:TIDIG_COMP_CNT: 0
; COMPUTE_PGM_RSRC3_GFX90A:ACCUM_OFFSET: 4
; COMPUTE_PGM_RSRC3_GFX90A:TG_SPLIT: 0
	.section	.text._Z14sort_keys_fullILj32ELj32ELj1ELb0EdN10test_utils4lessEEvPT3_T4_,"axG",@progbits,_Z14sort_keys_fullILj32ELj32ELj1ELb0EdN10test_utils4lessEEvPT3_T4_,comdat
	.protected	_Z14sort_keys_fullILj32ELj32ELj1ELb0EdN10test_utils4lessEEvPT3_T4_ ; -- Begin function _Z14sort_keys_fullILj32ELj32ELj1ELb0EdN10test_utils4lessEEvPT3_T4_
	.globl	_Z14sort_keys_fullILj32ELj32ELj1ELb0EdN10test_utils4lessEEvPT3_T4_
	.p2align	8
	.type	_Z14sort_keys_fullILj32ELj32ELj1ELb0EdN10test_utils4lessEEvPT3_T4_,@function
_Z14sort_keys_fullILj32ELj32ELj1ELb0EdN10test_utils4lessEEvPT3_T4_: ; @_Z14sort_keys_fullILj32ELj32ELj1ELb0EdN10test_utils4lessEEvPT3_T4_
; %bb.0:
	s_load_dwordx2 s[0:1], s[4:5], 0x0
	s_lshl_b32 s2, s6, 5
	s_mov_b32 s3, 0
	s_lshl_b64 s[2:3], s[2:3], 3
	v_lshlrev_b32_e32 v0, 3, v0
	s_waitcnt lgkmcnt(0)
	s_add_u32 s0, s0, s2
	s_addc_u32 s1, s1, s3
	global_load_dwordx2 v[10:11], v0, s[0:1]
	v_mbcnt_lo_u32_b32 v1, -1, 0
	v_mbcnt_hi_u32_b32 v4, -1, v1
	v_and_b32_e32 v7, 30, v4
	v_or_b32_e32 v6, 1, v7
	v_sub_u32_e32 v8, v7, v6
	v_and_b32_e32 v5, 1, v4
	v_sub_u32_e32 v1, v6, v7
	v_add_u32_e32 v8, 2, v8
	v_and_b32_e32 v2, 31, v4
	v_min_i32_e32 v9, v5, v1
	v_sub_u32_e32 v1, v5, v8
	v_cmp_ge_i32_e32 vcc, v5, v8
	v_lshlrev_b32_e32 v3, 3, v2
	v_cndmask_b32_e32 v8, 0, v1, vcc
	v_mov_b32_e32 v1, s1
	v_add_co_u32_e64 v0, s[0:1], s0, v0
	; wave barrier
	v_cmp_lt_i32_e32 vcc, v8, v9
	v_addc_co_u32_e64 v1, s[0:1], 0, v1, s[0:1]
	s_waitcnt vmcnt(0)
	ds_write_b64 v3, v[10:11]
	v_lshlrev_b32_e32 v10, 3, v7
	; wave barrier
	s_and_saveexec_b64 s[0:1], vcc
	s_cbranch_execz .LBB30_4
; %bb.1:
	v_lshlrev_b32_e32 v11, 3, v5
	v_add3_u32 v11, v10, v11, 8
	s_mov_b64 s[2:3], 0
.LBB30_2:                               ; =>This Inner Loop Header: Depth=1
	v_sub_u32_e32 v12, v9, v8
	v_lshrrev_b32_e32 v13, 31, v12
	v_add_u32_e32 v12, v12, v13
	v_ashrrev_i32_e32 v12, 1, v12
	v_add_u32_e32 v16, v12, v8
	v_not_b32_e32 v13, v16
	v_lshl_add_u32 v12, v16, 3, v10
	v_lshl_add_u32 v14, v13, 3, v11
	ds_read_b64 v[12:13], v12
	ds_read_b64 v[14:15], v14
	v_add_u32_e32 v17, 1, v16
	s_waitcnt lgkmcnt(0)
	v_cmp_lt_f64_e32 vcc, v[14:15], v[12:13]
	v_cndmask_b32_e32 v9, v9, v16, vcc
	v_cndmask_b32_e32 v8, v17, v8, vcc
	v_cmp_ge_i32_e32 vcc, v8, v9
	s_or_b64 s[2:3], vcc, s[2:3]
	s_andn2_b64 exec, exec, s[2:3]
	s_cbranch_execnz .LBB30_2
; %bb.3:
	s_or_b64 exec, exec, s[2:3]
.LBB30_4:
	s_or_b64 exec, exec, s[0:1]
	v_add_u32_e32 v7, v7, v5
	v_lshl_add_u32 v9, v8, 3, v10
	v_sub_u32_e32 v7, v7, v8
	v_lshlrev_b32_e32 v7, 3, v7
	ds_read_b64 v[10:11], v9
	ds_read_b64 v[12:13], v7 offset:8
	v_add_u32_e32 v5, v6, v5
	v_sub_u32_e32 v5, v5, v8
	v_cmp_lt_i32_e64 s[0:1], 0, v8
	v_cmp_ge_i32_e32 vcc, v6, v5
	s_waitcnt lgkmcnt(0)
	v_cmp_lt_f64_e64 s[2:3], v[12:13], v[10:11]
	s_or_b64 s[0:1], s[0:1], s[2:3]
	s_and_b64 vcc, vcc, s[0:1]
	v_cndmask_b32_e32 v7, v11, v13, vcc
	v_cndmask_b32_e32 v6, v10, v12, vcc
	v_and_b32_e32 v8, 28, v4
	; wave barrier
	ds_write_b64 v3, v[6:7]
	v_or_b32_e32 v7, 2, v8
	v_add_u32_e32 v6, 4, v8
	v_and_b32_e32 v5, 3, v4
	v_sub_u32_e32 v9, v6, v7
	v_sub_u32_e32 v10, v7, v8
	;; [unrolled: 1-line block ×3, first 2 shown]
	v_cmp_ge_i32_e32 vcc, v5, v9
	v_cndmask_b32_e32 v9, 0, v11, vcc
	v_min_i32_e32 v11, v5, v10
	v_cmp_lt_i32_e32 vcc, v9, v11
	v_lshlrev_b32_e32 v10, 3, v8
	; wave barrier
	s_and_saveexec_b64 s[0:1], vcc
	s_cbranch_execz .LBB30_8
; %bb.5:
	v_lshlrev_b32_e32 v12, 3, v5
	v_add3_u32 v12, v10, v12, 16
	s_mov_b64 s[2:3], 0
.LBB30_6:                               ; =>This Inner Loop Header: Depth=1
	v_sub_u32_e32 v13, v11, v9
	v_lshrrev_b32_e32 v14, 31, v13
	v_add_u32_e32 v13, v13, v14
	v_ashrrev_i32_e32 v13, 1, v13
	v_add_u32_e32 v13, v13, v9
	v_not_b32_e32 v15, v13
	v_lshl_add_u32 v14, v13, 3, v10
	v_lshl_add_u32 v16, v15, 3, v12
	ds_read_b64 v[14:15], v14
	ds_read_b64 v[16:17], v16
	v_add_u32_e32 v18, 1, v13
	s_waitcnt lgkmcnt(0)
	v_cmp_lt_f64_e32 vcc, v[16:17], v[14:15]
	v_cndmask_b32_e32 v11, v11, v13, vcc
	v_cndmask_b32_e32 v9, v18, v9, vcc
	v_cmp_ge_i32_e32 vcc, v9, v11
	s_or_b64 s[2:3], vcc, s[2:3]
	s_andn2_b64 exec, exec, s[2:3]
	s_cbranch_execnz .LBB30_6
; %bb.7:
	s_or_b64 exec, exec, s[2:3]
.LBB30_8:
	s_or_b64 exec, exec, s[0:1]
	v_add_u32_e32 v8, v8, v5
	v_lshl_add_u32 v10, v9, 3, v10
	v_sub_u32_e32 v8, v8, v9
	v_lshlrev_b32_e32 v8, 3, v8
	ds_read_b64 v[10:11], v10
	ds_read_b64 v[12:13], v8 offset:16
	v_add_u32_e32 v5, v7, v5
	v_sub_u32_e32 v5, v5, v9
	v_cmp_lt_i32_e64 s[0:1], 1, v9
	v_cmp_gt_i32_e32 vcc, v6, v5
	s_waitcnt lgkmcnt(0)
	v_cmp_lt_f64_e64 s[2:3], v[12:13], v[10:11]
	s_or_b64 s[0:1], s[0:1], s[2:3]
	s_and_b64 vcc, vcc, s[0:1]
	v_cndmask_b32_e32 v7, v11, v13, vcc
	v_cndmask_b32_e32 v6, v10, v12, vcc
	v_and_b32_e32 v8, 24, v4
	; wave barrier
	ds_write_b64 v3, v[6:7]
	v_or_b32_e32 v7, 4, v8
	v_add_u32_e32 v6, 8, v8
	v_and_b32_e32 v5, 7, v4
	v_sub_u32_e32 v9, v6, v7
	v_sub_u32_e32 v10, v7, v8
	;; [unrolled: 1-line block ×3, first 2 shown]
	v_cmp_ge_i32_e32 vcc, v5, v9
	v_cndmask_b32_e32 v9, 0, v11, vcc
	v_min_i32_e32 v11, v5, v10
	v_cmp_lt_i32_e32 vcc, v9, v11
	v_lshlrev_b32_e32 v10, 3, v8
	; wave barrier
	s_and_saveexec_b64 s[0:1], vcc
	s_cbranch_execz .LBB30_12
; %bb.9:
	v_lshlrev_b32_e32 v12, 3, v5
	v_add3_u32 v12, v10, v12, 32
	s_mov_b64 s[2:3], 0
.LBB30_10:                              ; =>This Inner Loop Header: Depth=1
	v_sub_u32_e32 v13, v11, v9
	v_lshrrev_b32_e32 v14, 31, v13
	v_add_u32_e32 v13, v13, v14
	v_ashrrev_i32_e32 v13, 1, v13
	v_add_u32_e32 v13, v13, v9
	v_not_b32_e32 v15, v13
	v_lshl_add_u32 v14, v13, 3, v10
	v_lshl_add_u32 v16, v15, 3, v12
	ds_read_b64 v[14:15], v14
	ds_read_b64 v[16:17], v16
	v_add_u32_e32 v18, 1, v13
	s_waitcnt lgkmcnt(0)
	v_cmp_lt_f64_e32 vcc, v[16:17], v[14:15]
	v_cndmask_b32_e32 v11, v11, v13, vcc
	v_cndmask_b32_e32 v9, v18, v9, vcc
	v_cmp_ge_i32_e32 vcc, v9, v11
	s_or_b64 s[2:3], vcc, s[2:3]
	s_andn2_b64 exec, exec, s[2:3]
	s_cbranch_execnz .LBB30_10
; %bb.11:
	s_or_b64 exec, exec, s[2:3]
.LBB30_12:
	s_or_b64 exec, exec, s[0:1]
	v_add_u32_e32 v8, v8, v5
	v_lshl_add_u32 v10, v9, 3, v10
	v_sub_u32_e32 v8, v8, v9
	v_lshlrev_b32_e32 v8, 3, v8
	ds_read_b64 v[10:11], v10
	ds_read_b64 v[12:13], v8 offset:32
	v_add_u32_e32 v5, v7, v5
	v_sub_u32_e32 v5, v5, v9
	v_cmp_lt_i32_e64 s[0:1], 3, v9
	v_cmp_gt_i32_e32 vcc, v6, v5
	s_waitcnt lgkmcnt(0)
	v_cmp_lt_f64_e64 s[2:3], v[12:13], v[10:11]
	s_or_b64 s[0:1], s[0:1], s[2:3]
	s_and_b64 vcc, vcc, s[0:1]
	v_cndmask_b32_e32 v7, v11, v13, vcc
	v_cndmask_b32_e32 v6, v10, v12, vcc
	; wave barrier
	ds_write_b64 v3, v[6:7]
	v_and_b32_e32 v7, 16, v4
	v_or_b32_e32 v6, 8, v7
	v_add_u32_e32 v5, 16, v7
	v_and_b32_e32 v4, 15, v4
	v_sub_u32_e32 v8, v5, v6
	v_sub_u32_e32 v9, v6, v7
	;; [unrolled: 1-line block ×3, first 2 shown]
	v_cmp_ge_i32_e32 vcc, v4, v8
	v_cndmask_b32_e32 v8, 0, v10, vcc
	v_min_i32_e32 v10, v4, v9
	v_cmp_lt_i32_e32 vcc, v8, v10
	v_lshlrev_b32_e32 v9, 3, v7
	; wave barrier
	s_and_saveexec_b64 s[0:1], vcc
	s_cbranch_execz .LBB30_16
; %bb.13:
	v_lshlrev_b32_e32 v11, 3, v4
	v_add3_u32 v11, v9, v11, 64
	s_mov_b64 s[2:3], 0
.LBB30_14:                              ; =>This Inner Loop Header: Depth=1
	v_sub_u32_e32 v12, v10, v8
	v_lshrrev_b32_e32 v13, 31, v12
	v_add_u32_e32 v12, v12, v13
	v_ashrrev_i32_e32 v12, 1, v12
	v_add_u32_e32 v16, v12, v8
	v_not_b32_e32 v13, v16
	v_lshl_add_u32 v12, v16, 3, v9
	v_lshl_add_u32 v14, v13, 3, v11
	ds_read_b64 v[12:13], v12
	ds_read_b64 v[14:15], v14
	v_add_u32_e32 v17, 1, v16
	s_waitcnt lgkmcnt(0)
	v_cmp_lt_f64_e32 vcc, v[14:15], v[12:13]
	v_cndmask_b32_e32 v10, v10, v16, vcc
	v_cndmask_b32_e32 v8, v17, v8, vcc
	v_cmp_ge_i32_e32 vcc, v8, v10
	s_or_b64 s[2:3], vcc, s[2:3]
	s_andn2_b64 exec, exec, s[2:3]
	s_cbranch_execnz .LBB30_14
; %bb.15:
	s_or_b64 exec, exec, s[2:3]
.LBB30_16:
	s_or_b64 exec, exec, s[0:1]
	v_add_u32_e32 v7, v7, v4
	v_lshl_add_u32 v9, v8, 3, v9
	v_sub_u32_e32 v7, v7, v8
	v_lshlrev_b32_e32 v7, 3, v7
	ds_read_b64 v[10:11], v9
	ds_read_b64 v[12:13], v7 offset:64
	v_add_u32_e32 v4, v6, v4
	v_sub_u32_e32 v4, v4, v8
	v_cmp_lt_i32_e64 s[0:1], 7, v8
	v_cmp_gt_i32_e32 vcc, v5, v4
	s_waitcnt lgkmcnt(0)
	v_cmp_lt_f64_e64 s[2:3], v[12:13], v[10:11]
	s_or_b64 s[0:1], s[0:1], s[2:3]
	s_and_b64 vcc, vcc, s[0:1]
	v_cndmask_b32_e32 v5, v11, v13, vcc
	v_cndmask_b32_e32 v4, v10, v12, vcc
	; wave barrier
	ds_write_b64 v3, v[4:5]
	v_sub_u32_e64 v4, v2, 16 clamp
	v_min_i32_e32 v5, 16, v2
	v_cmp_lt_u32_e32 vcc, v4, v5
	; wave barrier
	s_and_saveexec_b64 s[0:1], vcc
	s_cbranch_execz .LBB30_20
; %bb.17:
	v_add_u32_e32 v3, 0x80, v3
	s_mov_b64 s[2:3], 0
.LBB30_18:                              ; =>This Inner Loop Header: Depth=1
	v_sub_u32_e32 v6, v5, v4
	v_lshrrev_b32_e32 v7, 31, v6
	v_add_u32_e32 v6, v6, v7
	v_ashrrev_i32_e32 v6, 1, v6
	v_add_u32_e32 v10, v6, v4
	v_not_b32_e32 v7, v10
	v_lshlrev_b32_e32 v6, 3, v10
	v_lshl_add_u32 v8, v7, 3, v3
	ds_read_b64 v[6:7], v6
	ds_read_b64 v[8:9], v8
	v_add_u32_e32 v11, 1, v10
	s_waitcnt lgkmcnt(0)
	v_cmp_lt_f64_e32 vcc, v[8:9], v[6:7]
	v_cndmask_b32_e32 v5, v5, v10, vcc
	v_cndmask_b32_e32 v4, v11, v4, vcc
	v_cmp_ge_i32_e32 vcc, v4, v5
	s_or_b64 s[2:3], vcc, s[2:3]
	s_andn2_b64 exec, exec, s[2:3]
	s_cbranch_execnz .LBB30_18
; %bb.19:
	s_or_b64 exec, exec, s[2:3]
.LBB30_20:
	s_or_b64 exec, exec, s[0:1]
	v_sub_u32_e32 v5, v2, v4
	v_lshlrev_b32_e32 v2, 3, v4
	v_lshlrev_b32_e32 v6, 3, v5
	ds_read_b64 v[2:3], v2
	ds_read_b64 v[6:7], v6 offset:128
	v_add_u32_e32 v5, 16, v5
	v_cmp_lt_i32_e64 s[0:1], 15, v4
	v_cmp_gt_i32_e32 vcc, 32, v5
	s_waitcnt lgkmcnt(0)
	v_cmp_lt_f64_e64 s[2:3], v[6:7], v[2:3]
	s_or_b64 s[0:1], s[0:1], s[2:3]
	s_and_b64 vcc, vcc, s[0:1]
	v_cndmask_b32_e32 v3, v3, v7, vcc
	v_cndmask_b32_e32 v2, v2, v6, vcc
	global_store_dwordx2 v[0:1], v[2:3], off
	s_endpgm
	.section	.rodata,"a",@progbits
	.p2align	6, 0x0
	.amdhsa_kernel _Z14sort_keys_fullILj32ELj32ELj1ELb0EdN10test_utils4lessEEvPT3_T4_
		.amdhsa_group_segment_fixed_size 264
		.amdhsa_private_segment_fixed_size 0
		.amdhsa_kernarg_size 12
		.amdhsa_user_sgpr_count 6
		.amdhsa_user_sgpr_private_segment_buffer 1
		.amdhsa_user_sgpr_dispatch_ptr 0
		.amdhsa_user_sgpr_queue_ptr 0
		.amdhsa_user_sgpr_kernarg_segment_ptr 1
		.amdhsa_user_sgpr_dispatch_id 0
		.amdhsa_user_sgpr_flat_scratch_init 0
		.amdhsa_user_sgpr_kernarg_preload_length 0
		.amdhsa_user_sgpr_kernarg_preload_offset 0
		.amdhsa_user_sgpr_private_segment_size 0
		.amdhsa_uses_dynamic_stack 0
		.amdhsa_system_sgpr_private_segment_wavefront_offset 0
		.amdhsa_system_sgpr_workgroup_id_x 1
		.amdhsa_system_sgpr_workgroup_id_y 0
		.amdhsa_system_sgpr_workgroup_id_z 0
		.amdhsa_system_sgpr_workgroup_info 0
		.amdhsa_system_vgpr_workitem_id 0
		.amdhsa_next_free_vgpr 19
		.amdhsa_next_free_sgpr 7
		.amdhsa_accum_offset 20
		.amdhsa_reserve_vcc 1
		.amdhsa_reserve_flat_scratch 0
		.amdhsa_float_round_mode_32 0
		.amdhsa_float_round_mode_16_64 0
		.amdhsa_float_denorm_mode_32 3
		.amdhsa_float_denorm_mode_16_64 3
		.amdhsa_dx10_clamp 1
		.amdhsa_ieee_mode 1
		.amdhsa_fp16_overflow 0
		.amdhsa_tg_split 0
		.amdhsa_exception_fp_ieee_invalid_op 0
		.amdhsa_exception_fp_denorm_src 0
		.amdhsa_exception_fp_ieee_div_zero 0
		.amdhsa_exception_fp_ieee_overflow 0
		.amdhsa_exception_fp_ieee_underflow 0
		.amdhsa_exception_fp_ieee_inexact 0
		.amdhsa_exception_int_div_zero 0
	.end_amdhsa_kernel
	.section	.text._Z14sort_keys_fullILj32ELj32ELj1ELb0EdN10test_utils4lessEEvPT3_T4_,"axG",@progbits,_Z14sort_keys_fullILj32ELj32ELj1ELb0EdN10test_utils4lessEEvPT3_T4_,comdat
.Lfunc_end30:
	.size	_Z14sort_keys_fullILj32ELj32ELj1ELb0EdN10test_utils4lessEEvPT3_T4_, .Lfunc_end30-_Z14sort_keys_fullILj32ELj32ELj1ELb0EdN10test_utils4lessEEvPT3_T4_
                                        ; -- End function
	.section	.AMDGPU.csdata,"",@progbits
; Kernel info:
; codeLenInByte = 1372
; NumSgprs: 11
; NumVgprs: 19
; NumAgprs: 0
; TotalNumVgprs: 19
; ScratchSize: 0
; MemoryBound: 0
; FloatMode: 240
; IeeeMode: 1
; LDSByteSize: 264 bytes/workgroup (compile time only)
; SGPRBlocks: 1
; VGPRBlocks: 2
; NumSGPRsForWavesPerEU: 11
; NumVGPRsForWavesPerEU: 19
; AccumOffset: 20
; Occupancy: 8
; WaveLimiterHint : 0
; COMPUTE_PGM_RSRC2:SCRATCH_EN: 0
; COMPUTE_PGM_RSRC2:USER_SGPR: 6
; COMPUTE_PGM_RSRC2:TRAP_HANDLER: 0
; COMPUTE_PGM_RSRC2:TGID_X_EN: 1
; COMPUTE_PGM_RSRC2:TGID_Y_EN: 0
; COMPUTE_PGM_RSRC2:TGID_Z_EN: 0
; COMPUTE_PGM_RSRC2:TIDIG_COMP_CNT: 0
; COMPUTE_PGM_RSRC3_GFX90A:ACCUM_OFFSET: 4
; COMPUTE_PGM_RSRC3_GFX90A:TG_SPLIT: 0
	.section	.text._Z14sort_keys_fullILj64ELj16ELj1ELb0EfN10test_utils4lessEEvPT3_T4_,"axG",@progbits,_Z14sort_keys_fullILj64ELj16ELj1ELb0EfN10test_utils4lessEEvPT3_T4_,comdat
	.protected	_Z14sort_keys_fullILj64ELj16ELj1ELb0EfN10test_utils4lessEEvPT3_T4_ ; -- Begin function _Z14sort_keys_fullILj64ELj16ELj1ELb0EfN10test_utils4lessEEvPT3_T4_
	.globl	_Z14sort_keys_fullILj64ELj16ELj1ELb0EfN10test_utils4lessEEvPT3_T4_
	.p2align	8
	.type	_Z14sort_keys_fullILj64ELj16ELj1ELb0EfN10test_utils4lessEEvPT3_T4_,@function
_Z14sort_keys_fullILj64ELj16ELj1ELb0EfN10test_utils4lessEEvPT3_T4_: ; @_Z14sort_keys_fullILj64ELj16ELj1ELb0EfN10test_utils4lessEEvPT3_T4_
; %bb.0:
	s_load_dwordx2 s[0:1], s[4:5], 0x0
	s_lshl_b32 s2, s6, 6
	s_mov_b32 s3, 0
	s_lshl_b64 s[2:3], s[2:3], 2
	v_lshlrev_b32_e32 v1, 2, v0
	s_waitcnt lgkmcnt(0)
	s_add_u32 s0, s0, s2
	s_addc_u32 s1, s1, s3
	global_load_dword v11, v1, s[0:1]
	v_mbcnt_lo_u32_b32 v2, -1, 0
	v_mbcnt_hi_u32_b32 v5, -1, v2
	v_and_b32_e32 v8, 14, v5
	v_and_b32_e32 v3, 15, v5
	v_or_b32_e32 v7, 1, v8
	s_movk_i32 s2, 0x44
	v_lshrrev_b32_e32 v0, 4, v0
	v_lshlrev_b32_e32 v4, 2, v3
	v_sub_u32_e32 v9, v8, v7
	v_mul_u32_u24_e32 v2, 0x44, v0
	v_and_b32_e32 v6, 1, v5
	v_mad_u32_u24 v4, v0, s2, v4
	v_sub_u32_e32 v0, v7, v8
	v_add_u32_e32 v9, 2, v9
	v_min_i32_e32 v10, v6, v0
	v_sub_u32_e32 v0, v6, v9
	v_cmp_ge_i32_e32 vcc, v6, v9
	v_cndmask_b32_e32 v9, 0, v0, vcc
	v_mov_b32_e32 v12, s1
	v_add_co_u32_e32 v0, vcc, s0, v1
	v_addc_co_u32_e32 v1, vcc, 0, v12, vcc
	v_cmp_lt_i32_e32 vcc, v9, v10
	; wave barrier
	s_waitcnt vmcnt(0)
	ds_write_b32 v4, v11
	; wave barrier
	s_and_saveexec_b64 s[0:1], vcc
	s_cbranch_execz .LBB31_4
; %bb.1:
	v_lshl_add_u32 v11, v8, 2, v2
	v_lshlrev_b32_e32 v12, 2, v6
	v_add3_u32 v12, v11, v12, 4
	s_mov_b64 s[2:3], 0
.LBB31_2:                               ; =>This Inner Loop Header: Depth=1
	v_sub_u32_e32 v13, v10, v9
	v_lshrrev_b32_e32 v14, 31, v13
	v_add_u32_e32 v13, v13, v14
	v_ashrrev_i32_e32 v13, 1, v13
	v_add_u32_e32 v13, v13, v9
	v_not_b32_e32 v15, v13
	v_lshl_add_u32 v14, v13, 2, v11
	v_lshl_add_u32 v15, v15, 2, v12
	ds_read_b32 v14, v14
	ds_read_b32 v15, v15
	v_add_u32_e32 v16, 1, v13
	s_waitcnt lgkmcnt(0)
	v_cmp_lt_f32_e32 vcc, v15, v14
	v_cndmask_b32_e32 v10, v10, v13, vcc
	v_cndmask_b32_e32 v9, v16, v9, vcc
	v_cmp_ge_i32_e32 vcc, v9, v10
	s_or_b64 s[2:3], vcc, s[2:3]
	s_andn2_b64 exec, exec, s[2:3]
	s_cbranch_execnz .LBB31_2
; %bb.3:
	s_or_b64 exec, exec, s[2:3]
.LBB31_4:
	s_or_b64 exec, exec, s[0:1]
	v_lshlrev_b32_e32 v11, 2, v8
	v_add_u32_e32 v8, v8, v6
	v_lshlrev_b32_e32 v10, 2, v9
	v_sub_u32_e32 v8, v8, v9
	v_add3_u32 v10, v2, v10, v11
	v_lshl_add_u32 v8, v8, 2, v2
	ds_read_b32 v10, v10
	ds_read_b32 v8, v8 offset:4
	v_add_u32_e32 v6, v7, v6
	v_sub_u32_e32 v6, v6, v9
	v_cmp_lt_i32_e64 s[0:1], 0, v9
	v_cmp_ge_i32_e32 vcc, v7, v6
	s_waitcnt lgkmcnt(0)
	v_cmp_lt_f32_e64 s[2:3], v8, v10
	s_or_b64 s[0:1], s[0:1], s[2:3]
	s_and_b64 vcc, vcc, s[0:1]
	v_and_b32_e32 v9, 12, v5
	v_cndmask_b32_e32 v6, v10, v8, vcc
	v_or_b32_e32 v8, 2, v9
	v_add_u32_e32 v7, 4, v9
	; wave barrier
	ds_write_b32 v4, v6
	v_and_b32_e32 v6, 3, v5
	v_sub_u32_e32 v10, v7, v8
	v_sub_u32_e32 v11, v8, v9
	;; [unrolled: 1-line block ×3, first 2 shown]
	v_cmp_ge_i32_e32 vcc, v6, v10
	v_cndmask_b32_e32 v10, 0, v12, vcc
	v_min_i32_e32 v11, v6, v11
	v_cmp_lt_i32_e32 vcc, v10, v11
	; wave barrier
	s_and_saveexec_b64 s[0:1], vcc
	s_cbranch_execz .LBB31_8
; %bb.5:
	v_lshl_add_u32 v12, v9, 2, v2
	v_lshlrev_b32_e32 v13, 2, v6
	v_add3_u32 v13, v12, v13, 8
	s_mov_b64 s[2:3], 0
.LBB31_6:                               ; =>This Inner Loop Header: Depth=1
	v_sub_u32_e32 v14, v11, v10
	v_lshrrev_b32_e32 v15, 31, v14
	v_add_u32_e32 v14, v14, v15
	v_ashrrev_i32_e32 v14, 1, v14
	v_add_u32_e32 v14, v14, v10
	v_not_b32_e32 v16, v14
	v_lshl_add_u32 v15, v14, 2, v12
	v_lshl_add_u32 v16, v16, 2, v13
	ds_read_b32 v15, v15
	ds_read_b32 v16, v16
	v_add_u32_e32 v17, 1, v14
	s_waitcnt lgkmcnt(0)
	v_cmp_lt_f32_e32 vcc, v16, v15
	v_cndmask_b32_e32 v11, v11, v14, vcc
	v_cndmask_b32_e32 v10, v17, v10, vcc
	v_cmp_ge_i32_e32 vcc, v10, v11
	s_or_b64 s[2:3], vcc, s[2:3]
	s_andn2_b64 exec, exec, s[2:3]
	s_cbranch_execnz .LBB31_6
; %bb.7:
	s_or_b64 exec, exec, s[2:3]
.LBB31_8:
	s_or_b64 exec, exec, s[0:1]
	v_lshlrev_b32_e32 v12, 2, v9
	v_add_u32_e32 v9, v9, v6
	v_lshlrev_b32_e32 v11, 2, v10
	v_sub_u32_e32 v9, v9, v10
	v_add3_u32 v11, v2, v11, v12
	v_lshl_add_u32 v9, v9, 2, v2
	ds_read_b32 v11, v11
	ds_read_b32 v9, v9 offset:8
	v_add_u32_e32 v6, v8, v6
	v_sub_u32_e32 v6, v6, v10
	v_cmp_lt_i32_e64 s[0:1], 1, v10
	v_cmp_gt_i32_e32 vcc, v7, v6
	s_waitcnt lgkmcnt(0)
	v_cmp_lt_f32_e64 s[2:3], v9, v11
	s_or_b64 s[0:1], s[0:1], s[2:3]
	s_and_b64 vcc, vcc, s[0:1]
	v_cndmask_b32_e32 v6, v11, v9, vcc
	v_and_b32_e32 v8, 8, v5
	; wave barrier
	ds_write_b32 v4, v6
	v_or_b32_e32 v7, 4, v8
	v_add_u32_e32 v6, 8, v8
	v_and_b32_e32 v5, 7, v5
	v_sub_u32_e32 v9, v6, v7
	v_sub_u32_e32 v10, v7, v8
	;; [unrolled: 1-line block ×3, first 2 shown]
	v_cmp_ge_i32_e32 vcc, v5, v9
	v_cndmask_b32_e32 v9, 0, v11, vcc
	v_min_i32_e32 v10, v5, v10
	v_cmp_lt_i32_e32 vcc, v9, v10
	; wave barrier
	s_and_saveexec_b64 s[0:1], vcc
	s_cbranch_execz .LBB31_12
; %bb.9:
	v_lshl_add_u32 v11, v8, 2, v2
	v_lshlrev_b32_e32 v12, 2, v5
	v_add3_u32 v12, v11, v12, 16
	s_mov_b64 s[2:3], 0
.LBB31_10:                              ; =>This Inner Loop Header: Depth=1
	v_sub_u32_e32 v13, v10, v9
	v_lshrrev_b32_e32 v14, 31, v13
	v_add_u32_e32 v13, v13, v14
	v_ashrrev_i32_e32 v13, 1, v13
	v_add_u32_e32 v13, v13, v9
	v_not_b32_e32 v15, v13
	v_lshl_add_u32 v14, v13, 2, v11
	v_lshl_add_u32 v15, v15, 2, v12
	ds_read_b32 v14, v14
	ds_read_b32 v15, v15
	v_add_u32_e32 v16, 1, v13
	s_waitcnt lgkmcnt(0)
	v_cmp_lt_f32_e32 vcc, v15, v14
	v_cndmask_b32_e32 v10, v10, v13, vcc
	v_cndmask_b32_e32 v9, v16, v9, vcc
	v_cmp_ge_i32_e32 vcc, v9, v10
	s_or_b64 s[2:3], vcc, s[2:3]
	s_andn2_b64 exec, exec, s[2:3]
	s_cbranch_execnz .LBB31_10
; %bb.11:
	s_or_b64 exec, exec, s[2:3]
.LBB31_12:
	s_or_b64 exec, exec, s[0:1]
	v_lshlrev_b32_e32 v11, 2, v8
	v_add_u32_e32 v8, v8, v5
	v_lshlrev_b32_e32 v10, 2, v9
	v_sub_u32_e32 v8, v8, v9
	v_add3_u32 v10, v2, v10, v11
	v_lshl_add_u32 v8, v8, 2, v2
	ds_read_b32 v10, v10
	ds_read_b32 v8, v8 offset:16
	v_add_u32_e32 v5, v7, v5
	v_sub_u32_e32 v5, v5, v9
	v_cmp_lt_i32_e64 s[0:1], 3, v9
	v_cmp_gt_i32_e32 vcc, v6, v5
	s_waitcnt lgkmcnt(0)
	v_cmp_lt_f32_e64 s[2:3], v8, v10
	s_or_b64 s[0:1], s[0:1], s[2:3]
	s_and_b64 vcc, vcc, s[0:1]
	v_cndmask_b32_e32 v5, v10, v8, vcc
	; wave barrier
	ds_write_b32 v4, v5
	v_sub_u32_e64 v5, v3, 8 clamp
	v_min_i32_e32 v6, 8, v3
	v_cmp_lt_u32_e32 vcc, v5, v6
	; wave barrier
	s_and_saveexec_b64 s[0:1], vcc
	s_cbranch_execz .LBB31_16
; %bb.13:
	v_add_u32_e32 v4, 32, v4
	s_mov_b64 s[2:3], 0
.LBB31_14:                              ; =>This Inner Loop Header: Depth=1
	v_sub_u32_e32 v7, v6, v5
	v_lshrrev_b32_e32 v8, 31, v7
	v_add_u32_e32 v7, v7, v8
	v_ashrrev_i32_e32 v7, 1, v7
	v_add_u32_e32 v7, v7, v5
	v_not_b32_e32 v9, v7
	v_lshl_add_u32 v8, v7, 2, v2
	v_lshl_add_u32 v9, v9, 2, v4
	ds_read_b32 v8, v8
	ds_read_b32 v9, v9
	v_add_u32_e32 v10, 1, v7
	s_waitcnt lgkmcnt(0)
	v_cmp_lt_f32_e32 vcc, v9, v8
	v_cndmask_b32_e32 v6, v6, v7, vcc
	v_cndmask_b32_e32 v5, v10, v5, vcc
	v_cmp_ge_i32_e32 vcc, v5, v6
	s_or_b64 s[2:3], vcc, s[2:3]
	s_andn2_b64 exec, exec, s[2:3]
	s_cbranch_execnz .LBB31_14
; %bb.15:
	s_or_b64 exec, exec, s[2:3]
.LBB31_16:
	s_or_b64 exec, exec, s[0:1]
	v_sub_u32_e32 v3, v3, v5
	v_lshl_add_u32 v4, v5, 2, v2
	v_lshl_add_u32 v2, v3, 2, v2
	ds_read_b32 v4, v4
	ds_read_b32 v2, v2 offset:32
	v_add_u32_e32 v3, 8, v3
	v_cmp_lt_i32_e64 s[0:1], 7, v5
	v_cmp_gt_i32_e32 vcc, 16, v3
	s_waitcnt lgkmcnt(0)
	v_cmp_lt_f32_e64 s[2:3], v2, v4
	s_or_b64 s[0:1], s[0:1], s[2:3]
	s_and_b64 vcc, vcc, s[0:1]
	v_cndmask_b32_e32 v2, v4, v2, vcc
	global_store_dword v[0:1], v2, off
	s_endpgm
	.section	.rodata,"a",@progbits
	.p2align	6, 0x0
	.amdhsa_kernel _Z14sort_keys_fullILj64ELj16ELj1ELb0EfN10test_utils4lessEEvPT3_T4_
		.amdhsa_group_segment_fixed_size 272
		.amdhsa_private_segment_fixed_size 0
		.amdhsa_kernarg_size 12
		.amdhsa_user_sgpr_count 6
		.amdhsa_user_sgpr_private_segment_buffer 1
		.amdhsa_user_sgpr_dispatch_ptr 0
		.amdhsa_user_sgpr_queue_ptr 0
		.amdhsa_user_sgpr_kernarg_segment_ptr 1
		.amdhsa_user_sgpr_dispatch_id 0
		.amdhsa_user_sgpr_flat_scratch_init 0
		.amdhsa_user_sgpr_kernarg_preload_length 0
		.amdhsa_user_sgpr_kernarg_preload_offset 0
		.amdhsa_user_sgpr_private_segment_size 0
		.amdhsa_uses_dynamic_stack 0
		.amdhsa_system_sgpr_private_segment_wavefront_offset 0
		.amdhsa_system_sgpr_workgroup_id_x 1
		.amdhsa_system_sgpr_workgroup_id_y 0
		.amdhsa_system_sgpr_workgroup_id_z 0
		.amdhsa_system_sgpr_workgroup_info 0
		.amdhsa_system_vgpr_workitem_id 0
		.amdhsa_next_free_vgpr 18
		.amdhsa_next_free_sgpr 7
		.amdhsa_accum_offset 20
		.amdhsa_reserve_vcc 1
		.amdhsa_reserve_flat_scratch 0
		.amdhsa_float_round_mode_32 0
		.amdhsa_float_round_mode_16_64 0
		.amdhsa_float_denorm_mode_32 3
		.amdhsa_float_denorm_mode_16_64 3
		.amdhsa_dx10_clamp 1
		.amdhsa_ieee_mode 1
		.amdhsa_fp16_overflow 0
		.amdhsa_tg_split 0
		.amdhsa_exception_fp_ieee_invalid_op 0
		.amdhsa_exception_fp_denorm_src 0
		.amdhsa_exception_fp_ieee_div_zero 0
		.amdhsa_exception_fp_ieee_overflow 0
		.amdhsa_exception_fp_ieee_underflow 0
		.amdhsa_exception_fp_ieee_inexact 0
		.amdhsa_exception_int_div_zero 0
	.end_amdhsa_kernel
	.section	.text._Z14sort_keys_fullILj64ELj16ELj1ELb0EfN10test_utils4lessEEvPT3_T4_,"axG",@progbits,_Z14sort_keys_fullILj64ELj16ELj1ELb0EfN10test_utils4lessEEvPT3_T4_,comdat
.Lfunc_end31:
	.size	_Z14sort_keys_fullILj64ELj16ELj1ELb0EfN10test_utils4lessEEvPT3_T4_, .Lfunc_end31-_Z14sort_keys_fullILj64ELj16ELj1ELb0EfN10test_utils4lessEEvPT3_T4_
                                        ; -- End function
	.section	.AMDGPU.csdata,"",@progbits
; Kernel info:
; codeLenInByte = 1164
; NumSgprs: 11
; NumVgprs: 18
; NumAgprs: 0
; TotalNumVgprs: 18
; ScratchSize: 0
; MemoryBound: 0
; FloatMode: 240
; IeeeMode: 1
; LDSByteSize: 272 bytes/workgroup (compile time only)
; SGPRBlocks: 1
; VGPRBlocks: 2
; NumSGPRsForWavesPerEU: 11
; NumVGPRsForWavesPerEU: 18
; AccumOffset: 20
; Occupancy: 8
; WaveLimiterHint : 0
; COMPUTE_PGM_RSRC2:SCRATCH_EN: 0
; COMPUTE_PGM_RSRC2:USER_SGPR: 6
; COMPUTE_PGM_RSRC2:TRAP_HANDLER: 0
; COMPUTE_PGM_RSRC2:TGID_X_EN: 1
; COMPUTE_PGM_RSRC2:TGID_Y_EN: 0
; COMPUTE_PGM_RSRC2:TGID_Z_EN: 0
; COMPUTE_PGM_RSRC2:TIDIG_COMP_CNT: 0
; COMPUTE_PGM_RSRC3_GFX90A:ACCUM_OFFSET: 4
; COMPUTE_PGM_RSRC3_GFX90A:TG_SPLIT: 0
	.section	.text._Z14sort_keys_fullILj256ELj2ELj1ELb0EjN10test_utils4lessEEvPT3_T4_,"axG",@progbits,_Z14sort_keys_fullILj256ELj2ELj1ELb0EjN10test_utils4lessEEvPT3_T4_,comdat
	.protected	_Z14sort_keys_fullILj256ELj2ELj1ELb0EjN10test_utils4lessEEvPT3_T4_ ; -- Begin function _Z14sort_keys_fullILj256ELj2ELj1ELb0EjN10test_utils4lessEEvPT3_T4_
	.globl	_Z14sort_keys_fullILj256ELj2ELj1ELb0EjN10test_utils4lessEEvPT3_T4_
	.p2align	8
	.type	_Z14sort_keys_fullILj256ELj2ELj1ELb0EjN10test_utils4lessEEvPT3_T4_,@function
_Z14sort_keys_fullILj256ELj2ELj1ELb0EjN10test_utils4lessEEvPT3_T4_: ; @_Z14sort_keys_fullILj256ELj2ELj1ELb0EjN10test_utils4lessEEvPT3_T4_
; %bb.0:
	s_load_dwordx2 s[0:1], s[4:5], 0x0
	s_lshl_b32 s2, s6, 8
	s_mov_b32 s3, 0
	s_lshl_b64 s[2:3], s[2:3], 2
	v_lshlrev_b32_e32 v1, 2, v0
	s_waitcnt lgkmcnt(0)
	s_add_u32 s0, s0, s2
	s_addc_u32 s1, s1, s3
	global_load_dword v6, v1, s[0:1]
	v_mbcnt_lo_u32_b32 v3, -1, 0
	v_mbcnt_hi_u32_b32 v4, -1, v3
	v_and_b32_e32 v4, 1, v4
	v_lshrrev_b32_e32 v0, 1, v0
	v_lshlrev_b32_e32 v5, 2, v4
	v_mul_u32_u24_e32 v3, 12, v0
	v_mad_u32_u24 v5, v0, 12, v5
	v_mov_b32_e32 v7, s1
	v_add_co_u32_e32 v0, vcc, s0, v1
	v_addc_co_u32_e32 v1, vcc, 0, v7, vcc
	v_mov_b32_e32 v2, 0
	v_cmp_eq_u32_e32 vcc, 1, v4
	; wave barrier
	s_waitcnt vmcnt(0)
	ds_write_b32 v5, v6
	; wave barrier
	s_and_saveexec_b64 s[0:1], vcc
	s_cbranch_execz .LBB32_4
; %bb.1:
	v_add_u32_e32 v5, 4, v5
	s_mov_b64 s[2:3], 0
	v_mov_b32_e32 v2, 0
	v_mov_b32_e32 v6, 1
.LBB32_2:                               ; =>This Inner Loop Header: Depth=1
	v_sub_u32_e32 v7, v6, v2
	v_lshrrev_b32_e32 v8, 31, v7
	v_add_u32_e32 v7, v7, v8
	v_ashrrev_i32_e32 v7, 1, v7
	v_add_u32_e32 v7, v7, v2
	v_not_b32_e32 v9, v7
	v_lshl_add_u32 v8, v7, 2, v3
	v_lshl_add_u32 v9, v9, 2, v5
	ds_read_b32 v8, v8
	ds_read_b32 v9, v9
	v_add_u32_e32 v10, 1, v7
	s_waitcnt lgkmcnt(0)
	v_cmp_lt_u32_e32 vcc, v9, v8
	v_cndmask_b32_e32 v6, v6, v7, vcc
	v_cndmask_b32_e32 v2, v10, v2, vcc
	v_cmp_ge_i32_e32 vcc, v2, v6
	s_or_b64 s[2:3], vcc, s[2:3]
	s_andn2_b64 exec, exec, s[2:3]
	s_cbranch_execnz .LBB32_2
; %bb.3:
	s_or_b64 exec, exec, s[2:3]
.LBB32_4:
	s_or_b64 exec, exec, s[0:1]
	v_sub_u32_e32 v4, v4, v2
	v_lshl_add_u32 v5, v2, 2, v3
	v_lshl_add_u32 v3, v4, 2, v3
	ds_read_b32 v5, v5
	ds_read_b32 v3, v3 offset:4
	v_add_u32_e32 v4, 1, v4
	v_cmp_lt_i32_e64 s[0:1], 0, v2
	v_cmp_gt_i32_e32 vcc, 2, v4
	s_waitcnt lgkmcnt(0)
	v_cmp_lt_u32_e64 s[2:3], v3, v5
	s_or_b64 s[0:1], s[0:1], s[2:3]
	s_and_b64 vcc, vcc, s[0:1]
	v_cndmask_b32_e32 v2, v5, v3, vcc
	global_store_dword v[0:1], v2, off
	s_endpgm
	.section	.rodata,"a",@progbits
	.p2align	6, 0x0
	.amdhsa_kernel _Z14sort_keys_fullILj256ELj2ELj1ELb0EjN10test_utils4lessEEvPT3_T4_
		.amdhsa_group_segment_fixed_size 1536
		.amdhsa_private_segment_fixed_size 0
		.amdhsa_kernarg_size 12
		.amdhsa_user_sgpr_count 6
		.amdhsa_user_sgpr_private_segment_buffer 1
		.amdhsa_user_sgpr_dispatch_ptr 0
		.amdhsa_user_sgpr_queue_ptr 0
		.amdhsa_user_sgpr_kernarg_segment_ptr 1
		.amdhsa_user_sgpr_dispatch_id 0
		.amdhsa_user_sgpr_flat_scratch_init 0
		.amdhsa_user_sgpr_kernarg_preload_length 0
		.amdhsa_user_sgpr_kernarg_preload_offset 0
		.amdhsa_user_sgpr_private_segment_size 0
		.amdhsa_uses_dynamic_stack 0
		.amdhsa_system_sgpr_private_segment_wavefront_offset 0
		.amdhsa_system_sgpr_workgroup_id_x 1
		.amdhsa_system_sgpr_workgroup_id_y 0
		.amdhsa_system_sgpr_workgroup_id_z 0
		.amdhsa_system_sgpr_workgroup_info 0
		.amdhsa_system_vgpr_workitem_id 0
		.amdhsa_next_free_vgpr 11
		.amdhsa_next_free_sgpr 7
		.amdhsa_accum_offset 12
		.amdhsa_reserve_vcc 1
		.amdhsa_reserve_flat_scratch 0
		.amdhsa_float_round_mode_32 0
		.amdhsa_float_round_mode_16_64 0
		.amdhsa_float_denorm_mode_32 3
		.amdhsa_float_denorm_mode_16_64 3
		.amdhsa_dx10_clamp 1
		.amdhsa_ieee_mode 1
		.amdhsa_fp16_overflow 0
		.amdhsa_tg_split 0
		.amdhsa_exception_fp_ieee_invalid_op 0
		.amdhsa_exception_fp_denorm_src 0
		.amdhsa_exception_fp_ieee_div_zero 0
		.amdhsa_exception_fp_ieee_overflow 0
		.amdhsa_exception_fp_ieee_underflow 0
		.amdhsa_exception_fp_ieee_inexact 0
		.amdhsa_exception_int_div_zero 0
	.end_amdhsa_kernel
	.section	.text._Z14sort_keys_fullILj256ELj2ELj1ELb0EjN10test_utils4lessEEvPT3_T4_,"axG",@progbits,_Z14sort_keys_fullILj256ELj2ELj1ELb0EjN10test_utils4lessEEvPT3_T4_,comdat
.Lfunc_end32:
	.size	_Z14sort_keys_fullILj256ELj2ELj1ELb0EjN10test_utils4lessEEvPT3_T4_, .Lfunc_end32-_Z14sort_keys_fullILj256ELj2ELj1ELb0EjN10test_utils4lessEEvPT3_T4_
                                        ; -- End function
	.section	.AMDGPU.csdata,"",@progbits
; Kernel info:
; codeLenInByte = 328
; NumSgprs: 11
; NumVgprs: 11
; NumAgprs: 0
; TotalNumVgprs: 11
; ScratchSize: 0
; MemoryBound: 0
; FloatMode: 240
; IeeeMode: 1
; LDSByteSize: 1536 bytes/workgroup (compile time only)
; SGPRBlocks: 1
; VGPRBlocks: 1
; NumSGPRsForWavesPerEU: 11
; NumVGPRsForWavesPerEU: 11
; AccumOffset: 12
; Occupancy: 8
; WaveLimiterHint : 0
; COMPUTE_PGM_RSRC2:SCRATCH_EN: 0
; COMPUTE_PGM_RSRC2:USER_SGPR: 6
; COMPUTE_PGM_RSRC2:TRAP_HANDLER: 0
; COMPUTE_PGM_RSRC2:TGID_X_EN: 1
; COMPUTE_PGM_RSRC2:TGID_Y_EN: 0
; COMPUTE_PGM_RSRC2:TGID_Z_EN: 0
; COMPUTE_PGM_RSRC2:TIDIG_COMP_CNT: 0
; COMPUTE_PGM_RSRC3_GFX90A:ACCUM_OFFSET: 2
; COMPUTE_PGM_RSRC3_GFX90A:TG_SPLIT: 0
	.section	.text._Z21sort_keys_values_fullILj256ELj32ELj7ELb0EiN10test_utils16custom_test_typeIsEENS0_7greaterEEvPT3_PT4_T5_,"axG",@progbits,_Z21sort_keys_values_fullILj256ELj32ELj7ELb0EiN10test_utils16custom_test_typeIsEENS0_7greaterEEvPT3_PT4_T5_,comdat
	.protected	_Z21sort_keys_values_fullILj256ELj32ELj7ELb0EiN10test_utils16custom_test_typeIsEENS0_7greaterEEvPT3_PT4_T5_ ; -- Begin function _Z21sort_keys_values_fullILj256ELj32ELj7ELb0EiN10test_utils16custom_test_typeIsEENS0_7greaterEEvPT3_PT4_T5_
	.globl	_Z21sort_keys_values_fullILj256ELj32ELj7ELb0EiN10test_utils16custom_test_typeIsEENS0_7greaterEEvPT3_PT4_T5_
	.p2align	8
	.type	_Z21sort_keys_values_fullILj256ELj32ELj7ELb0EiN10test_utils16custom_test_typeIsEENS0_7greaterEEvPT3_PT4_T5_,@function
_Z21sort_keys_values_fullILj256ELj32ELj7ELb0EiN10test_utils16custom_test_typeIsEENS0_7greaterEEvPT3_PT4_T5_: ; @_Z21sort_keys_values_fullILj256ELj32ELj7ELb0EiN10test_utils16custom_test_typeIsEENS0_7greaterEEvPT3_PT4_T5_
; %bb.0:
	s_load_dwordx4 s[0:3], s[4:5], 0x0
	s_mul_i32 s4, s6, 0x700
	s_mov_b32 s5, 0
	s_lshl_b64 s[4:5], s[4:5], 2
	v_mul_u32_u24_e32 v1, 7, v0
	s_waitcnt lgkmcnt(0)
	s_add_u32 s0, s0, s4
	s_addc_u32 s1, s1, s5
	v_lshlrev_b32_e32 v1, 2, v1
	global_load_dwordx3 v[16:18], v1, s[0:1] offset:16
	global_load_dwordx4 v[12:15], v1, s[0:1]
	s_add_u32 s2, s2, s4
	s_addc_u32 s3, s3, s5
	global_load_dwordx4 v[28:31], v1, s[2:3]
	global_load_dword v21, v1, s[2:3]
	global_load_dwordx3 v[32:34], v1, s[2:3] offset:16
	s_waitcnt vmcnt(3)
	v_mov_b32_e32 v4, v12
	v_cmp_gt_i32_e32 vcc, v13, v12
	v_mov_b32_e32 v5, v13
	v_mov_b32_e32 v6, v14
	;; [unrolled: 1-line block ×6, first 2 shown]
	s_waitcnt vmcnt(2)
	v_mov_b32_e32 v11, v29
	v_mov_b32_e32 v2, v13
	s_and_saveexec_b64 s[4:5], vcc
	s_cbranch_execz .LBB33_2
; %bb.1:
	v_mov_b32_e32 v4, v13
	v_mov_b32_e32 v5, v12
	;; [unrolled: 1-line block ×7, first 2 shown]
	s_waitcnt vmcnt(1)
	v_mov_b32_e32 v11, v21
	v_mov_b32_e32 v21, v29
	;; [unrolled: 1-line block ×4, first 2 shown]
.LBB33_2:
	s_or_b64 exec, exec, s[4:5]
	v_mov_b32_e32 v20, v10
	v_cmp_gt_i32_e32 vcc, v7, v6
	v_mov_b32_e32 v13, v31
	v_mov_b32_e32 v19, v9
	;; [unrolled: 1-line block ×8, first 2 shown]
	s_and_saveexec_b64 s[4:5], vcc
; %bb.3:
	v_mov_b32_e32 v14, v4
	v_mov_b32_e32 v15, v5
	;; [unrolled: 1-line block ×11, first 2 shown]
; %bb.4:
	s_or_b64 exec, exec, s[4:5]
	v_mov_b32_e32 v28, v20
	v_cmp_gt_i32_e32 vcc, v19, v18
	s_waitcnt vmcnt(0)
	v_mov_b32_e32 v35, v33
	v_mov_b32_e32 v27, v19
	;; [unrolled: 1-line block ×8, first 2 shown]
	s_and_saveexec_b64 s[4:5], vcc
; %bb.5:
	v_mov_b32_e32 v22, v14
	v_mov_b32_e32 v23, v15
	;; [unrolled: 1-line block ×11, first 2 shown]
; %bb.6:
	s_or_b64 exec, exec, s[4:5]
	v_cmp_gt_i32_e32 vcc, v6, v2
	v_mov_b32_e32 v14, v30
	v_mov_b32_e32 v16, v6
	s_and_saveexec_b64 s[4:5], vcc
	s_xor_b64 s[4:5], exec, s[4:5]
; %bb.7:
	v_mov_b32_e32 v23, v6
	v_mov_b32_e32 v24, v2
	;; [unrolled: 1-line block ×6, first 2 shown]
; %bb.8:
	s_or_b64 exec, exec, s[4:5]
	v_cmp_gt_i32_e32 vcc, v18, v29
	v_mov_b32_e32 v15, v32
	v_mov_b32_e32 v19, v18
	s_and_saveexec_b64 s[4:5], vcc
; %bb.9:
	v_mov_b32_e32 v25, v18
	v_mov_b32_e32 v26, v29
	v_mov_b32_e32 v15, v13
	v_mov_b32_e32 v13, v32
	v_mov_b32_e32 v19, v29
	v_mov_b32_e32 v29, v18
; %bb.10:
	s_or_b64 exec, exec, s[4:5]
	v_mov_b32_e32 v4, v22
	v_cmp_gt_i32_e32 vcc, v28, v31
	v_mov_b32_e32 v5, v23
	v_mov_b32_e32 v6, v24
	;; [unrolled: 1-line block ×7, first 2 shown]
	s_and_saveexec_b64 s[4:5], vcc
	s_cbranch_execz .LBB33_12
; %bb.11:
	v_mov_b32_e32 v27, v28
	v_mov_b32_e32 v4, v22
	;; [unrolled: 1-line block ×10, first 2 shown]
	v_swap_b32 v35, v34
	v_mov_b32_e32 v17, v31
	v_mov_b32_e32 v31, v28
.LBB33_12:
	s_or_b64 exec, exec, s[4:5]
	v_cmp_gt_i32_e32 vcc, v2, v12
	v_mov_b32_e32 v18, v11
	v_mov_b32_e32 v20, v12
	s_and_saveexec_b64 s[4:5], vcc
	s_cbranch_execz .LBB33_14
; %bb.13:
	v_mov_b32_e32 v4, v6
	v_mov_b32_e32 v5, v7
	;; [unrolled: 1-line block ×17, first 2 shown]
.LBB33_14:
	s_or_b64 exec, exec, s[4:5]
	v_cmp_gt_i32_e32 vcc, v29, v16
	v_mov_b32_e32 v3, v13
	v_mov_b32_e32 v22, v29
	s_and_saveexec_b64 s[4:5], vcc
; %bb.15:
	v_mov_b32_e32 v6, v29
	v_mov_b32_e32 v7, v16
	v_mov_b32_e32 v3, v14
	v_mov_b32_e32 v14, v13
	v_mov_b32_e32 v22, v16
	v_mov_b32_e32 v16, v29
; %bb.16:
	s_or_b64 exec, exec, s[4:5]
	v_cmp_gt_i32_e32 vcc, v31, v19
	v_mov_b32_e32 v25, v35
	v_mov_b32_e32 v23, v31
	s_and_saveexec_b64 s[4:5], vcc
; %bb.17:
	v_mov_b32_e32 v8, v31
	v_mov_b32_e32 v9, v19
	v_mov_b32_e32 v25, v15
	v_mov_b32_e32 v15, v35
	v_mov_b32_e32 v23, v19
	v_mov_b32_e32 v19, v31
; %bb.18:
	;; [unrolled: 13-line block ×4, first 2 shown]
	s_or_b64 exec, exec, s[4:5]
	v_cmp_gt_i32_e32 vcc, v17, v23
	v_mov_b32_e32 v13, v17
	s_and_saveexec_b64 s[4:5], vcc
; %bb.23:
	v_mov_b32_e32 v15, v25
	v_mov_b32_e32 v9, v17
	;; [unrolled: 1-line block ×3, first 2 shown]
	v_swap_b32 v25, v34
	v_mov_b32_e32 v13, v23
	v_mov_b32_e32 v23, v17
; %bb.24:
	s_or_b64 exec, exec, s[4:5]
	v_cmp_gt_i32_e32 vcc, v2, v20
	v_mov_b32_e32 v16, v18
	v_mov_b32_e32 v26, v20
	s_and_saveexec_b64 s[4:5], vcc
; %bb.25:
	v_mov_b32_e32 v4, v2
	v_mov_b32_e32 v5, v20
	v_mov_b32_e32 v16, v21
	v_mov_b32_e32 v21, v18
	v_mov_b32_e32 v26, v2
	v_mov_b32_e32 v2, v20
; %bb.26:
	s_or_b64 exec, exec, s[4:5]
	v_cmp_gt_i32_e32 vcc, v22, v24
	v_mov_b32_e32 v17, v3
	v_mov_b32_e32 v27, v22
	s_and_saveexec_b64 s[4:5], vcc
; %bb.27:
	v_mov_b32_e32 v6, v22
	v_mov_b32_e32 v7, v24
	v_mov_b32_e32 v17, v11
	v_mov_b32_e32 v11, v3
	;; [unrolled: 13-line block ×5, first 2 shown]
	v_mov_b32_e32 v25, v27
	v_mov_b32_e32 v27, v14
; %bb.34:
	s_or_b64 exec, exec, s[4:5]
	v_mov_b32_e32 v12, s1
	v_mov_b32_e32 v11, s3
	v_cmp_gt_i32_e32 vcc, v13, v3
	s_and_saveexec_b64 s[4:5], vcc
; %bb.35:
	v_mov_b32_e32 v14, v18
	v_mov_b32_e32 v9, v13
	;; [unrolled: 1-line block ×3, first 2 shown]
	v_swap_b32 v18, v34
	v_mov_b32_e32 v3, v13
; %bb.36:
	s_or_b64 exec, exec, s[4:5]
	v_add_co_u32_e32 v14, vcc, s0, v1
	v_addc_co_u32_e32 v15, vcc, 0, v12, vcc
	v_add_co_u32_e32 v12, vcc, s2, v1
	v_lshrrev_b32_e32 v24, 5, v0
	v_mbcnt_lo_u32_b32 v0, -1, 0
	v_addc_co_u32_e32 v13, vcc, 0, v11, vcc
	v_mbcnt_hi_u32_b32 v11, -1, v0
	v_and_b32_e32 v1, 31, v11
	v_cmp_gt_i32_e64 s[2:3], v3, v25
	v_mul_u32_u24_e32 v0, 7, v1
	s_movk_i32 s6, 0x384
	v_cmp_gt_i32_e32 vcc, v2, v26
	v_cndmask_b32_e64 v8, v8, v3, s[2:3]
	v_lshlrev_b32_e32 v3, 2, v0
	v_cndmask_b32_e32 v5, v5, v26, vcc
	v_cndmask_b32_e32 v2, v4, v2, vcc
	v_cmp_gt_i32_e64 s[0:1], v27, v23
	v_mad_u32_u24 v3, v24, s6, v3
	v_cndmask_b32_e64 v4, v7, v23, s[0:1]
	v_cndmask_b32_e64 v6, v6, v27, s[0:1]
	;; [unrolled: 1-line block ×3, first 2 shown]
	; wave barrier
	ds_write2_b32 v3, v2, v5 offset1:1
	ds_write2_b32 v3, v6, v4 offset0:2 offset1:3
	ds_write2_b32 v3, v8, v7 offset0:4 offset1:5
	ds_write_b32 v3, v10 offset:24
	v_and_b32_e32 v2, 30, v11
	v_mul_u32_u24_e32 v23, 7, v2
	v_and_b32_e32 v2, 1, v11
	v_cmp_eq_u32_e64 s[4:5], 1, v2
	v_lshlrev_b32_e32 v2, 2, v23
	v_mov_b32_e32 v22, 0
	v_mad_u32_u24 v6, v24, s6, v2
	; wave barrier
	s_and_saveexec_b64 s[8:9], s[4:5]
	s_cbranch_execz .LBB33_40
; %bb.37:
	v_add_u32_e32 v2, 56, v6
	s_mov_b64 s[10:11], 0
	v_mov_b32_e32 v22, 0
	v_mov_b32_e32 v4, 7
.LBB33_38:                              ; =>This Inner Loop Header: Depth=1
	v_sub_u32_e32 v5, v4, v22
	v_lshrrev_b32_e32 v7, 31, v5
	v_add_u32_e32 v5, v5, v7
	v_ashrrev_i32_e32 v5, 1, v5
	v_add_u32_e32 v5, v5, v22
	v_not_b32_e32 v8, v5
	v_lshl_add_u32 v7, v5, 2, v6
	v_lshl_add_u32 v8, v8, 2, v2
	ds_read_b32 v7, v7
	ds_read_b32 v8, v8
	v_add_u32_e32 v9, 1, v5
	s_waitcnt lgkmcnt(0)
	v_cmp_gt_i32_e64 s[6:7], v8, v7
	v_cndmask_b32_e64 v4, v4, v5, s[6:7]
	v_cndmask_b32_e64 v22, v9, v22, s[6:7]
	v_cmp_ge_i32_e64 s[6:7], v22, v4
	s_or_b64 s[10:11], s[6:7], s[10:11]
	s_andn2_b64 exec, exec, s[10:11]
	s_cbranch_execnz .LBB33_38
; %bb.39:
	s_or_b64 exec, exec, s[10:11]
.LBB33_40:
	s_or_b64 exec, exec, s[8:9]
	v_cndmask_b32_e64 v8, 0, 7, s[4:5]
	v_lshl_add_u32 v25, v22, 2, v6
	v_add_u32_e32 v6, v23, v8
	v_mul_u32_u24_e32 v4, 0x384, v24
	v_sub_u32_e32 v6, v6, v22
	v_lshl_add_u32 v24, v6, 2, v4
	ds_read_b32 v6, v25
	ds_read_b32 v7, v24 offset:28
	v_add_u32_e32 v2, 7, v23
	v_add_u32_e32 v8, v2, v8
	;; [unrolled: 1-line block ×3, first 2 shown]
	v_sub_u32_e32 v8, v8, v22
	v_cmp_lt_i32_e64 s[6:7], 6, v22
	s_waitcnt lgkmcnt(0)
	v_cmp_gt_i32_e64 s[8:9], v7, v6
	v_cmp_gt_i32_e64 s[4:5], v5, v8
	s_or_b64 s[6:7], s[6:7], s[8:9]
	s_and_b64 s[4:5], s[4:5], s[6:7]
	s_xor_b64 s[6:7], s[4:5], -1
                                        ; implicit-def: $vgpr9
                                        ; implicit-def: $vgpr10
	s_and_saveexec_b64 s[8:9], s[6:7]
	s_xor_b64 s[6:7], exec, s[8:9]
	s_cbranch_execz .LBB33_42
; %bb.41:
	ds_read_b32 v10, v25 offset:4
	v_mov_b32_e32 v9, v7
                                        ; implicit-def: $vgpr24
.LBB33_42:
	s_andn2_saveexec_b64 s[6:7], s[6:7]
	s_cbranch_execz .LBB33_44
; %bb.43:
	ds_read_b32 v9, v24 offset:32
	s_waitcnt lgkmcnt(1)
	v_mov_b32_e32 v10, v6
.LBB33_44:
	s_or_b64 exec, exec, s[6:7]
	v_add_u32_e32 v22, v22, v23
	v_add_u32_e32 v24, 1, v22
	;; [unrolled: 1-line block ×3, first 2 shown]
	v_cndmask_b32_e64 v24, v24, v22, s[4:5]
	v_cndmask_b32_e64 v23, v8, v23, s[4:5]
	v_cmp_ge_i32_e64 s[8:9], v24, v2
	s_waitcnt lgkmcnt(0)
	v_cmp_gt_i32_e64 s[10:11], v9, v10
	v_cmp_lt_i32_e64 s[6:7], v23, v5
	s_or_b64 s[8:9], s[8:9], s[10:11]
	s_and_b64 s[6:7], s[6:7], s[8:9]
	s_xor_b64 s[8:9], s[6:7], -1
                                        ; implicit-def: $vgpr25
	s_and_saveexec_b64 s[10:11], s[8:9]
	s_xor_b64 s[8:9], exec, s[10:11]
	s_cbranch_execz .LBB33_46
; %bb.45:
	v_lshl_add_u32 v25, v24, 2, v4
	ds_read_b32 v25, v25 offset:4
.LBB33_46:
	s_or_saveexec_b64 s[8:9], s[8:9]
	v_mov_b32_e32 v26, v9
	s_xor_b64 exec, exec, s[8:9]
	s_cbranch_execz .LBB33_48
; %bb.47:
	s_waitcnt lgkmcnt(0)
	v_lshl_add_u32 v25, v23, 2, v4
	ds_read_b32 v26, v25 offset:4
	v_mov_b32_e32 v25, v10
.LBB33_48:
	s_or_b64 exec, exec, s[8:9]
	v_add_u32_e32 v28, 1, v24
	v_add_u32_e32 v27, 1, v23
	v_cndmask_b32_e64 v28, v28, v24, s[6:7]
	v_cndmask_b32_e64 v27, v23, v27, s[6:7]
	v_cmp_ge_i32_e64 s[10:11], v28, v2
	s_waitcnt lgkmcnt(0)
	v_cmp_gt_i32_e64 s[12:13], v26, v25
	v_cmp_lt_i32_e64 s[8:9], v27, v5
	s_or_b64 s[10:11], s[10:11], s[12:13]
	s_and_b64 s[8:9], s[8:9], s[10:11]
	s_xor_b64 s[10:11], s[8:9], -1
                                        ; implicit-def: $vgpr29
	s_and_saveexec_b64 s[12:13], s[10:11]
	s_xor_b64 s[10:11], exec, s[12:13]
	s_cbranch_execz .LBB33_50
; %bb.49:
	v_lshl_add_u32 v29, v28, 2, v4
	ds_read_b32 v29, v29 offset:4
.LBB33_50:
	s_or_saveexec_b64 s[10:11], s[10:11]
	v_mov_b32_e32 v30, v26
	s_xor_b64 exec, exec, s[10:11]
	s_cbranch_execz .LBB33_52
; %bb.51:
	s_waitcnt lgkmcnt(0)
	v_lshl_add_u32 v29, v27, 2, v4
	ds_read_b32 v30, v29 offset:4
	v_mov_b32_e32 v29, v25
.LBB33_52:
	s_or_b64 exec, exec, s[10:11]
	v_add_u32_e32 v32, 1, v28
	v_add_u32_e32 v31, 1, v27
	v_cndmask_b32_e64 v32, v32, v28, s[8:9]
	v_cndmask_b32_e64 v31, v27, v31, s[8:9]
	v_cmp_ge_i32_e64 s[12:13], v32, v2
	s_waitcnt lgkmcnt(0)
	v_cmp_gt_i32_e64 s[14:15], v30, v29
	v_cmp_lt_i32_e64 s[10:11], v31, v5
	s_or_b64 s[12:13], s[12:13], s[14:15]
	s_and_b64 s[10:11], s[10:11], s[12:13]
	s_xor_b64 s[12:13], s[10:11], -1
                                        ; implicit-def: $vgpr33
	s_and_saveexec_b64 s[14:15], s[12:13]
	s_xor_b64 s[12:13], exec, s[14:15]
	s_cbranch_execz .LBB33_54
; %bb.53:
	v_lshl_add_u32 v33, v32, 2, v4
	ds_read_b32 v33, v33 offset:4
.LBB33_54:
	s_or_saveexec_b64 s[12:13], s[12:13]
	v_mov_b32_e32 v35, v30
	s_xor_b64 exec, exec, s[12:13]
	s_cbranch_execz .LBB33_56
; %bb.55:
	s_waitcnt lgkmcnt(0)
	v_lshl_add_u32 v33, v31, 2, v4
	ds_read_b32 v35, v33 offset:4
	v_mov_b32_e32 v33, v29
.LBB33_56:
	s_or_b64 exec, exec, s[12:13]
	v_add_u32_e32 v37, 1, v32
	v_add_u32_e32 v36, 1, v31
	v_cndmask_b32_e64 v37, v37, v32, s[10:11]
	v_cndmask_b32_e64 v36, v31, v36, s[10:11]
	v_cmp_ge_i32_e64 s[14:15], v37, v2
	s_waitcnt lgkmcnt(0)
	v_cmp_gt_i32_e64 s[16:17], v35, v33
	v_cmp_lt_i32_e64 s[12:13], v36, v5
	s_or_b64 s[14:15], s[14:15], s[16:17]
	s_and_b64 s[12:13], s[12:13], s[14:15]
	s_xor_b64 s[14:15], s[12:13], -1
                                        ; implicit-def: $vgpr38
	s_and_saveexec_b64 s[16:17], s[14:15]
	s_xor_b64 s[14:15], exec, s[16:17]
	s_cbranch_execz .LBB33_58
; %bb.57:
	v_lshl_add_u32 v38, v37, 2, v4
	ds_read_b32 v38, v38 offset:4
.LBB33_58:
	s_or_saveexec_b64 s[14:15], s[14:15]
	v_mov_b32_e32 v39, v35
	s_xor_b64 exec, exec, s[14:15]
	s_cbranch_execz .LBB33_60
; %bb.59:
	s_waitcnt lgkmcnt(0)
	v_lshl_add_u32 v38, v36, 2, v4
	ds_read_b32 v39, v38 offset:4
	v_mov_b32_e32 v38, v33
.LBB33_60:
	s_or_b64 exec, exec, s[14:15]
	v_add_u32_e32 v42, 1, v37
	v_add_u32_e32 v40, 1, v36
	v_cndmask_b32_e64 v42, v42, v37, s[12:13]
	v_cndmask_b32_e64 v41, v36, v40, s[12:13]
	v_cmp_ge_i32_e64 s[16:17], v42, v2
	s_waitcnt lgkmcnt(0)
	v_cmp_gt_i32_e64 s[18:19], v39, v38
	v_cmp_lt_i32_e64 s[14:15], v41, v5
	s_or_b64 s[16:17], s[16:17], s[18:19]
	s_and_b64 s[14:15], s[14:15], s[16:17]
	s_xor_b64 s[16:17], s[14:15], -1
                                        ; implicit-def: $vgpr40
	s_and_saveexec_b64 s[18:19], s[16:17]
	s_xor_b64 s[16:17], exec, s[18:19]
	s_cbranch_execz .LBB33_62
; %bb.61:
	v_lshl_add_u32 v40, v42, 2, v4
	ds_read_b32 v40, v40 offset:4
.LBB33_62:
	s_or_saveexec_b64 s[16:17], s[16:17]
	v_mov_b32_e32 v43, v39
	s_xor_b64 exec, exec, s[16:17]
	s_cbranch_execz .LBB33_64
; %bb.63:
	s_waitcnt lgkmcnt(0)
	v_lshl_add_u32 v40, v41, 2, v4
	ds_read_b32 v43, v40 offset:4
	v_mov_b32_e32 v40, v38
.LBB33_64:
	s_or_b64 exec, exec, s[16:17]
	v_add_u32_e32 v44, 1, v42
	v_cndmask_b32_e64 v38, v38, v39, s[14:15]
	v_add_u32_e32 v39, 1, v41
	v_cndmask_b32_e64 v44, v44, v42, s[14:15]
	v_cndmask_b32_e64 v39, v41, v39, s[14:15]
	;; [unrolled: 1-line block ×8, first 2 shown]
	v_cndmask_b32_e32 v7, v16, v21, vcc
	v_cndmask_b32_e32 v8, v21, v16, vcc
	v_cndmask_b32_e64 v10, v17, v19, s[0:1]
	v_cndmask_b32_e64 v16, v19, v17, s[0:1]
	;; [unrolled: 1-line block ×4, first 2 shown]
	v_cmp_ge_i32_e64 s[0:1], v44, v2
	s_waitcnt lgkmcnt(0)
	v_cmp_gt_i32_e64 s[2:3], v43, v40
	v_cmp_lt_i32_e32 vcc, v39, v5
	s_or_b64 s[0:1], s[0:1], s[2:3]
	v_cndmask_b32_e64 v41, v42, v41, s[14:15]
	v_cndmask_b32_e64 v33, v33, v35, s[12:13]
	;; [unrolled: 1-line block ×5, first 2 shown]
	s_and_b64 vcc, vcc, s[0:1]
	v_cndmask_b32_e32 v2, v44, v39, vcc
	; wave barrier
	ds_write2_b32 v3, v8, v7 offset1:1
	ds_write2_b32 v3, v16, v10 offset0:2 offset1:3
	ds_write2_b32 v3, v18, v17 offset0:4 offset1:5
	ds_write_b32 v3, v34 offset:24
	v_lshl_add_u32 v5, v6, 2, v4
	v_lshl_add_u32 v6, v9, 2, v4
	;; [unrolled: 1-line block ×6, first 2 shown]
	; wave barrier
	v_lshl_add_u32 v16, v2, 2, v4
	ds_read_b32 v2, v5
	ds_read_b32 v5, v6
	;; [unrolled: 1-line block ×7, first 2 shown]
	v_and_b32_e32 v16, 28, v11
	v_cndmask_b32_e32 v19, v40, v43, vcc
	; wave barrier
	ds_write2_b32 v3, v23, v27 offset1:1
	ds_write2_b32 v3, v25, v29 offset0:2 offset1:3
	ds_write2_b32 v3, v33, v38 offset0:4 offset1:5
	ds_write_b32 v3, v19 offset:24
	v_mul_u32_u24_e32 v23, 7, v16
	v_and_b32_e32 v16, 3, v11
	v_mul_u32_u24_e32 v20, 7, v16
	v_mad_u32_u24 v17, v16, 7, -14
	v_cmp_lt_u32_e32 vcc, 1, v16
	v_cndmask_b32_e32 v24, 0, v17, vcc
	v_min_u32_e32 v16, 14, v20
	v_lshl_add_u32 v18, v23, 2, v4
	v_cmp_lt_i32_e32 vcc, v24, v16
	; wave barrier
	s_and_saveexec_b64 s[0:1], vcc
	s_cbranch_execz .LBB33_68
; %bb.65:
	v_lshlrev_b32_e32 v17, 2, v20
	v_add3_u32 v17, v18, v17, 56
	s_mov_b64 s[2:3], 0
.LBB33_66:                              ; =>This Inner Loop Header: Depth=1
	v_sub_u32_e32 v19, v16, v24
	v_lshrrev_b32_e32 v21, 31, v19
	v_add_u32_e32 v19, v19, v21
	v_ashrrev_i32_e32 v19, 1, v19
	v_add_u32_e32 v19, v19, v24
	v_not_b32_e32 v22, v19
	v_lshl_add_u32 v21, v19, 2, v18
	v_lshl_add_u32 v22, v22, 2, v17
	ds_read_b32 v21, v21
	ds_read_b32 v22, v22
	v_add_u32_e32 v25, 1, v19
	s_waitcnt lgkmcnt(0)
	v_cmp_gt_i32_e32 vcc, v22, v21
	v_cndmask_b32_e32 v16, v16, v19, vcc
	v_cndmask_b32_e32 v24, v25, v24, vcc
	v_cmp_ge_i32_e32 vcc, v24, v16
	s_or_b64 s[2:3], vcc, s[2:3]
	s_andn2_b64 exec, exec, s[2:3]
	s_cbranch_execnz .LBB33_66
; %bb.67:
	s_or_b64 exec, exec, s[2:3]
.LBB33_68:
	s_or_b64 exec, exec, s[0:1]
	v_lshl_add_u32 v26, v24, 2, v18
	v_add_u32_e32 v18, v23, v20
	v_sub_u32_e32 v18, v18, v24
	v_lshl_add_u32 v25, v18, 2, v4
	ds_read_b32 v18, v26
	ds_read_b32 v19, v25 offset:56
	v_add_u32_e32 v16, 14, v23
	v_add_u32_e32 v20, v16, v20
	;; [unrolled: 1-line block ×3, first 2 shown]
	v_sub_u32_e32 v20, v20, v24
	v_cmp_lt_i32_e64 s[0:1], 13, v24
	s_waitcnt lgkmcnt(0)
	v_cmp_gt_i32_e64 s[2:3], v19, v18
	v_cmp_gt_i32_e32 vcc, v17, v20
	s_or_b64 s[0:1], s[0:1], s[2:3]
	s_and_b64 vcc, vcc, s[0:1]
	s_xor_b64 s[0:1], vcc, -1
                                        ; implicit-def: $vgpr21
                                        ; implicit-def: $vgpr22
	s_and_saveexec_b64 s[2:3], s[0:1]
	s_xor_b64 s[0:1], exec, s[2:3]
	s_cbranch_execz .LBB33_70
; %bb.69:
	ds_read_b32 v22, v26 offset:4
	v_mov_b32_e32 v21, v19
                                        ; implicit-def: $vgpr25
.LBB33_70:
	s_andn2_saveexec_b64 s[0:1], s[0:1]
	s_cbranch_execz .LBB33_72
; %bb.71:
	ds_read_b32 v21, v25 offset:60
	s_waitcnt lgkmcnt(1)
	v_mov_b32_e32 v22, v18
.LBB33_72:
	s_or_b64 exec, exec, s[0:1]
	v_add_u32_e32 v23, v24, v23
	v_add_u32_e32 v25, 1, v23
	;; [unrolled: 1-line block ×3, first 2 shown]
	v_cndmask_b32_e32 v25, v25, v23, vcc
	v_cndmask_b32_e32 v24, v20, v24, vcc
	v_cmp_ge_i32_e64 s[2:3], v25, v16
	s_waitcnt lgkmcnt(0)
	v_cmp_gt_i32_e64 s[4:5], v21, v22
	v_cmp_lt_i32_e64 s[0:1], v24, v17
	s_or_b64 s[2:3], s[2:3], s[4:5]
	s_and_b64 s[0:1], s[0:1], s[2:3]
	s_xor_b64 s[2:3], s[0:1], -1
                                        ; implicit-def: $vgpr26
	s_and_saveexec_b64 s[4:5], s[2:3]
	s_xor_b64 s[2:3], exec, s[4:5]
	s_cbranch_execz .LBB33_74
; %bb.73:
	v_lshl_add_u32 v26, v25, 2, v4
	ds_read_b32 v26, v26 offset:4
.LBB33_74:
	s_or_saveexec_b64 s[2:3], s[2:3]
	v_mov_b32_e32 v27, v21
	s_xor_b64 exec, exec, s[2:3]
	s_cbranch_execz .LBB33_76
; %bb.75:
	s_waitcnt lgkmcnt(0)
	v_lshl_add_u32 v26, v24, 2, v4
	ds_read_b32 v27, v26 offset:4
	v_mov_b32_e32 v26, v22
.LBB33_76:
	s_or_b64 exec, exec, s[2:3]
	v_add_u32_e32 v29, 1, v25
	v_add_u32_e32 v28, 1, v24
	v_cndmask_b32_e64 v29, v29, v25, s[0:1]
	v_cndmask_b32_e64 v28, v24, v28, s[0:1]
	v_cmp_ge_i32_e64 s[4:5], v29, v16
	s_waitcnt lgkmcnt(0)
	v_cmp_gt_i32_e64 s[6:7], v27, v26
	v_cmp_lt_i32_e64 s[2:3], v28, v17
	s_or_b64 s[4:5], s[4:5], s[6:7]
	s_and_b64 s[2:3], s[2:3], s[4:5]
	s_xor_b64 s[4:5], s[2:3], -1
                                        ; implicit-def: $vgpr30
	s_and_saveexec_b64 s[6:7], s[4:5]
	s_xor_b64 s[4:5], exec, s[6:7]
	s_cbranch_execz .LBB33_78
; %bb.77:
	v_lshl_add_u32 v30, v29, 2, v4
	ds_read_b32 v30, v30 offset:4
.LBB33_78:
	s_or_saveexec_b64 s[4:5], s[4:5]
	v_mov_b32_e32 v31, v27
	s_xor_b64 exec, exec, s[4:5]
	s_cbranch_execz .LBB33_80
; %bb.79:
	s_waitcnt lgkmcnt(0)
	v_lshl_add_u32 v30, v28, 2, v4
	ds_read_b32 v31, v30 offset:4
	v_mov_b32_e32 v30, v26
.LBB33_80:
	s_or_b64 exec, exec, s[4:5]
	v_add_u32_e32 v33, 1, v29
	v_add_u32_e32 v32, 1, v28
	v_cndmask_b32_e64 v33, v33, v29, s[2:3]
	v_cndmask_b32_e64 v32, v28, v32, s[2:3]
	v_cmp_ge_i32_e64 s[6:7], v33, v16
	s_waitcnt lgkmcnt(0)
	v_cmp_gt_i32_e64 s[8:9], v31, v30
	v_cmp_lt_i32_e64 s[4:5], v32, v17
	s_or_b64 s[6:7], s[6:7], s[8:9]
	s_and_b64 s[4:5], s[4:5], s[6:7]
	s_xor_b64 s[6:7], s[4:5], -1
                                        ; implicit-def: $vgpr34
	s_and_saveexec_b64 s[8:9], s[6:7]
	s_xor_b64 s[6:7], exec, s[8:9]
	s_cbranch_execz .LBB33_82
; %bb.81:
	v_lshl_add_u32 v34, v33, 2, v4
	ds_read_b32 v34, v34 offset:4
.LBB33_82:
	s_or_saveexec_b64 s[6:7], s[6:7]
	v_mov_b32_e32 v35, v31
	s_xor_b64 exec, exec, s[6:7]
	s_cbranch_execz .LBB33_84
; %bb.83:
	s_waitcnt lgkmcnt(0)
	v_lshl_add_u32 v34, v32, 2, v4
	ds_read_b32 v35, v34 offset:4
	v_mov_b32_e32 v34, v30
.LBB33_84:
	s_or_b64 exec, exec, s[6:7]
	v_add_u32_e32 v37, 1, v33
	v_add_u32_e32 v36, 1, v32
	v_cndmask_b32_e64 v37, v37, v33, s[4:5]
	v_cndmask_b32_e64 v36, v32, v36, s[4:5]
	v_cmp_ge_i32_e64 s[8:9], v37, v16
	s_waitcnt lgkmcnt(0)
	v_cmp_gt_i32_e64 s[10:11], v35, v34
	v_cmp_lt_i32_e64 s[6:7], v36, v17
	s_or_b64 s[8:9], s[8:9], s[10:11]
	s_and_b64 s[6:7], s[6:7], s[8:9]
	s_xor_b64 s[8:9], s[6:7], -1
                                        ; implicit-def: $vgpr38
	s_and_saveexec_b64 s[10:11], s[8:9]
	s_xor_b64 s[8:9], exec, s[10:11]
	s_cbranch_execz .LBB33_86
; %bb.85:
	v_lshl_add_u32 v38, v37, 2, v4
	ds_read_b32 v38, v38 offset:4
.LBB33_86:
	s_or_saveexec_b64 s[8:9], s[8:9]
	v_mov_b32_e32 v39, v35
	s_xor_b64 exec, exec, s[8:9]
	s_cbranch_execz .LBB33_88
; %bb.87:
	s_waitcnt lgkmcnt(0)
	v_lshl_add_u32 v38, v36, 2, v4
	ds_read_b32 v39, v38 offset:4
	v_mov_b32_e32 v38, v34
.LBB33_88:
	s_or_b64 exec, exec, s[8:9]
	v_add_u32_e32 v42, 1, v37
	v_add_u32_e32 v40, 1, v36
	v_cndmask_b32_e64 v42, v42, v37, s[6:7]
	v_cndmask_b32_e64 v41, v36, v40, s[6:7]
	v_cmp_ge_i32_e64 s[10:11], v42, v16
	s_waitcnt lgkmcnt(0)
	v_cmp_gt_i32_e64 s[12:13], v39, v38
	v_cmp_lt_i32_e64 s[8:9], v41, v17
	s_or_b64 s[10:11], s[10:11], s[12:13]
	s_and_b64 s[8:9], s[8:9], s[10:11]
	s_xor_b64 s[10:11], s[8:9], -1
                                        ; implicit-def: $vgpr40
	s_and_saveexec_b64 s[12:13], s[10:11]
	s_xor_b64 s[10:11], exec, s[12:13]
	s_cbranch_execz .LBB33_90
; %bb.89:
	v_lshl_add_u32 v40, v42, 2, v4
	ds_read_b32 v40, v40 offset:4
.LBB33_90:
	s_or_saveexec_b64 s[10:11], s[10:11]
	v_mov_b32_e32 v43, v39
	s_xor_b64 exec, exec, s[10:11]
	s_cbranch_execz .LBB33_92
; %bb.91:
	s_waitcnt lgkmcnt(0)
	v_lshl_add_u32 v40, v41, 2, v4
	ds_read_b32 v43, v40 offset:4
	v_mov_b32_e32 v40, v38
.LBB33_92:
	s_or_b64 exec, exec, s[10:11]
	v_add_u32_e32 v44, 1, v42
	v_cndmask_b32_e64 v38, v38, v39, s[8:9]
	v_add_u32_e32 v39, 1, v41
	v_cndmask_b32_e64 v44, v44, v42, s[8:9]
	v_cndmask_b32_e64 v39, v41, v39, s[8:9]
	;; [unrolled: 1-line block ×6, first 2 shown]
	v_cmp_ge_i32_e64 s[0:1], v44, v16
	s_waitcnt lgkmcnt(0)
	v_cmp_gt_i32_e64 s[2:3], v43, v40
	v_cndmask_b32_e32 v18, v18, v19, vcc
	v_cndmask_b32_e32 v19, v23, v20, vcc
	v_cmp_lt_i32_e32 vcc, v39, v17
	s_or_b64 s[0:1], s[0:1], s[2:3]
	s_and_b64 vcc, vcc, s[0:1]
	v_cndmask_b32_e64 v41, v42, v41, s[8:9]
	v_cndmask_b32_e64 v34, v34, v35, s[6:7]
	;; [unrolled: 1-line block ×5, first 2 shown]
	v_cndmask_b32_e32 v17, v44, v39, vcc
	; wave barrier
	ds_write2_b32 v3, v2, v5 offset1:1
	ds_write2_b32 v3, v6, v7 offset0:2 offset1:3
	ds_write2_b32 v3, v8, v9 offset0:4 offset1:5
	ds_write_b32 v3, v10 offset:24
	v_lshl_add_u32 v2, v19, 2, v4
	v_lshl_add_u32 v5, v22, 2, v4
	;; [unrolled: 1-line block ×7, first 2 shown]
	; wave barrier
	ds_read_b32 v2, v2
	ds_read_b32 v5, v5
	;; [unrolled: 1-line block ×7, first 2 shown]
	v_cndmask_b32_e32 v16, v40, v43, vcc
	; wave barrier
	ds_write2_b32 v3, v18, v21 offset1:1
	ds_write2_b32 v3, v26, v30 offset0:2 offset1:3
	ds_write2_b32 v3, v34, v38 offset0:4 offset1:5
	ds_write_b32 v3, v16 offset:24
	v_and_b32_e32 v16, 24, v11
	v_mul_u32_u24_e32 v23, 7, v16
	v_and_b32_e32 v16, 7, v11
	v_not_b32_e32 v17, 27
	v_mul_u32_u24_e32 v20, 7, v16
	v_mad_u32_u24 v17, v16, 7, v17
	v_cmp_lt_u32_e32 vcc, 3, v16
	v_cndmask_b32_e32 v24, 0, v17, vcc
	v_min_u32_e32 v16, 28, v20
	v_lshl_add_u32 v18, v23, 2, v4
	v_cmp_lt_i32_e32 vcc, v24, v16
	; wave barrier
	s_and_saveexec_b64 s[0:1], vcc
	s_cbranch_execz .LBB33_96
; %bb.93:
	v_lshlrev_b32_e32 v17, 2, v20
	s_movk_i32 s2, 0x70
	v_add3_u32 v17, v18, v17, s2
	s_mov_b64 s[2:3], 0
.LBB33_94:                              ; =>This Inner Loop Header: Depth=1
	v_sub_u32_e32 v19, v16, v24
	v_lshrrev_b32_e32 v21, 31, v19
	v_add_u32_e32 v19, v19, v21
	v_ashrrev_i32_e32 v19, 1, v19
	v_add_u32_e32 v19, v19, v24
	v_not_b32_e32 v22, v19
	v_lshl_add_u32 v21, v19, 2, v18
	v_lshl_add_u32 v22, v22, 2, v17
	ds_read_b32 v21, v21
	ds_read_b32 v22, v22
	v_add_u32_e32 v25, 1, v19
	s_waitcnt lgkmcnt(0)
	v_cmp_gt_i32_e32 vcc, v22, v21
	v_cndmask_b32_e32 v16, v16, v19, vcc
	v_cndmask_b32_e32 v24, v25, v24, vcc
	v_cmp_ge_i32_e32 vcc, v24, v16
	s_or_b64 s[2:3], vcc, s[2:3]
	s_andn2_b64 exec, exec, s[2:3]
	s_cbranch_execnz .LBB33_94
; %bb.95:
	s_or_b64 exec, exec, s[2:3]
.LBB33_96:
	s_or_b64 exec, exec, s[0:1]
	v_lshl_add_u32 v26, v24, 2, v18
	v_add_u32_e32 v18, v23, v20
	v_sub_u32_e32 v18, v18, v24
	v_lshl_add_u32 v25, v18, 2, v4
	ds_read_b32 v18, v26
	ds_read_b32 v19, v25 offset:112
	v_add_u32_e32 v16, 28, v23
	v_add_u32_e32 v20, v16, v20
	;; [unrolled: 1-line block ×3, first 2 shown]
	v_sub_u32_e32 v20, v20, v24
	v_cmp_lt_i32_e64 s[0:1], 27, v24
	s_waitcnt lgkmcnt(0)
	v_cmp_gt_i32_e64 s[2:3], v19, v18
	v_cmp_gt_i32_e32 vcc, v17, v20
	s_or_b64 s[0:1], s[0:1], s[2:3]
	s_and_b64 vcc, vcc, s[0:1]
	s_xor_b64 s[0:1], vcc, -1
                                        ; implicit-def: $vgpr21
                                        ; implicit-def: $vgpr22
	s_and_saveexec_b64 s[2:3], s[0:1]
	s_xor_b64 s[0:1], exec, s[2:3]
	s_cbranch_execz .LBB33_98
; %bb.97:
	ds_read_b32 v22, v26 offset:4
	v_mov_b32_e32 v21, v19
                                        ; implicit-def: $vgpr25
.LBB33_98:
	s_andn2_saveexec_b64 s[0:1], s[0:1]
	s_cbranch_execz .LBB33_100
; %bb.99:
	ds_read_b32 v21, v25 offset:116
	s_waitcnt lgkmcnt(1)
	v_mov_b32_e32 v22, v18
.LBB33_100:
	s_or_b64 exec, exec, s[0:1]
	v_add_u32_e32 v23, v24, v23
	v_add_u32_e32 v25, 1, v23
	;; [unrolled: 1-line block ×3, first 2 shown]
	v_cndmask_b32_e32 v25, v25, v23, vcc
	v_cndmask_b32_e32 v24, v20, v24, vcc
	v_cmp_ge_i32_e64 s[2:3], v25, v16
	s_waitcnt lgkmcnt(0)
	v_cmp_gt_i32_e64 s[4:5], v21, v22
	v_cmp_lt_i32_e64 s[0:1], v24, v17
	s_or_b64 s[2:3], s[2:3], s[4:5]
	s_and_b64 s[0:1], s[0:1], s[2:3]
	s_xor_b64 s[2:3], s[0:1], -1
                                        ; implicit-def: $vgpr26
	s_and_saveexec_b64 s[4:5], s[2:3]
	s_xor_b64 s[2:3], exec, s[4:5]
	s_cbranch_execz .LBB33_102
; %bb.101:
	v_lshl_add_u32 v26, v25, 2, v4
	ds_read_b32 v26, v26 offset:4
.LBB33_102:
	s_or_saveexec_b64 s[2:3], s[2:3]
	v_mov_b32_e32 v27, v21
	s_xor_b64 exec, exec, s[2:3]
	s_cbranch_execz .LBB33_104
; %bb.103:
	s_waitcnt lgkmcnt(0)
	v_lshl_add_u32 v26, v24, 2, v4
	ds_read_b32 v27, v26 offset:4
	v_mov_b32_e32 v26, v22
.LBB33_104:
	s_or_b64 exec, exec, s[2:3]
	v_add_u32_e32 v29, 1, v25
	v_add_u32_e32 v28, 1, v24
	v_cndmask_b32_e64 v29, v29, v25, s[0:1]
	v_cndmask_b32_e64 v28, v24, v28, s[0:1]
	v_cmp_ge_i32_e64 s[4:5], v29, v16
	s_waitcnt lgkmcnt(0)
	v_cmp_gt_i32_e64 s[6:7], v27, v26
	v_cmp_lt_i32_e64 s[2:3], v28, v17
	s_or_b64 s[4:5], s[4:5], s[6:7]
	s_and_b64 s[2:3], s[2:3], s[4:5]
	s_xor_b64 s[4:5], s[2:3], -1
                                        ; implicit-def: $vgpr30
	s_and_saveexec_b64 s[6:7], s[4:5]
	s_xor_b64 s[4:5], exec, s[6:7]
	s_cbranch_execz .LBB33_106
; %bb.105:
	v_lshl_add_u32 v30, v29, 2, v4
	ds_read_b32 v30, v30 offset:4
.LBB33_106:
	s_or_saveexec_b64 s[4:5], s[4:5]
	v_mov_b32_e32 v31, v27
	s_xor_b64 exec, exec, s[4:5]
	s_cbranch_execz .LBB33_108
; %bb.107:
	s_waitcnt lgkmcnt(0)
	v_lshl_add_u32 v30, v28, 2, v4
	ds_read_b32 v31, v30 offset:4
	v_mov_b32_e32 v30, v26
.LBB33_108:
	s_or_b64 exec, exec, s[4:5]
	v_add_u32_e32 v33, 1, v29
	v_add_u32_e32 v32, 1, v28
	v_cndmask_b32_e64 v33, v33, v29, s[2:3]
	v_cndmask_b32_e64 v32, v28, v32, s[2:3]
	v_cmp_ge_i32_e64 s[6:7], v33, v16
	s_waitcnt lgkmcnt(0)
	v_cmp_gt_i32_e64 s[8:9], v31, v30
	v_cmp_lt_i32_e64 s[4:5], v32, v17
	s_or_b64 s[6:7], s[6:7], s[8:9]
	s_and_b64 s[4:5], s[4:5], s[6:7]
	s_xor_b64 s[6:7], s[4:5], -1
                                        ; implicit-def: $vgpr34
	s_and_saveexec_b64 s[8:9], s[6:7]
	s_xor_b64 s[6:7], exec, s[8:9]
	s_cbranch_execz .LBB33_110
; %bb.109:
	v_lshl_add_u32 v34, v33, 2, v4
	ds_read_b32 v34, v34 offset:4
.LBB33_110:
	s_or_saveexec_b64 s[6:7], s[6:7]
	v_mov_b32_e32 v35, v31
	s_xor_b64 exec, exec, s[6:7]
	s_cbranch_execz .LBB33_112
; %bb.111:
	s_waitcnt lgkmcnt(0)
	v_lshl_add_u32 v34, v32, 2, v4
	ds_read_b32 v35, v34 offset:4
	v_mov_b32_e32 v34, v30
.LBB33_112:
	s_or_b64 exec, exec, s[6:7]
	v_add_u32_e32 v37, 1, v33
	v_add_u32_e32 v36, 1, v32
	v_cndmask_b32_e64 v37, v37, v33, s[4:5]
	v_cndmask_b32_e64 v36, v32, v36, s[4:5]
	v_cmp_ge_i32_e64 s[8:9], v37, v16
	s_waitcnt lgkmcnt(0)
	v_cmp_gt_i32_e64 s[10:11], v35, v34
	v_cmp_lt_i32_e64 s[6:7], v36, v17
	s_or_b64 s[8:9], s[8:9], s[10:11]
	s_and_b64 s[6:7], s[6:7], s[8:9]
	s_xor_b64 s[8:9], s[6:7], -1
                                        ; implicit-def: $vgpr38
	s_and_saveexec_b64 s[10:11], s[8:9]
	s_xor_b64 s[8:9], exec, s[10:11]
	s_cbranch_execz .LBB33_114
; %bb.113:
	v_lshl_add_u32 v38, v37, 2, v4
	ds_read_b32 v38, v38 offset:4
.LBB33_114:
	s_or_saveexec_b64 s[8:9], s[8:9]
	v_mov_b32_e32 v39, v35
	s_xor_b64 exec, exec, s[8:9]
	s_cbranch_execz .LBB33_116
; %bb.115:
	s_waitcnt lgkmcnt(0)
	v_lshl_add_u32 v38, v36, 2, v4
	ds_read_b32 v39, v38 offset:4
	v_mov_b32_e32 v38, v34
.LBB33_116:
	s_or_b64 exec, exec, s[8:9]
	v_add_u32_e32 v42, 1, v37
	v_add_u32_e32 v40, 1, v36
	v_cndmask_b32_e64 v42, v42, v37, s[6:7]
	v_cndmask_b32_e64 v41, v36, v40, s[6:7]
	v_cmp_ge_i32_e64 s[10:11], v42, v16
	s_waitcnt lgkmcnt(0)
	v_cmp_gt_i32_e64 s[12:13], v39, v38
	v_cmp_lt_i32_e64 s[8:9], v41, v17
	s_or_b64 s[10:11], s[10:11], s[12:13]
	s_and_b64 s[8:9], s[8:9], s[10:11]
	s_xor_b64 s[10:11], s[8:9], -1
                                        ; implicit-def: $vgpr40
	s_and_saveexec_b64 s[12:13], s[10:11]
	s_xor_b64 s[10:11], exec, s[12:13]
	s_cbranch_execz .LBB33_118
; %bb.117:
	v_lshl_add_u32 v40, v42, 2, v4
	ds_read_b32 v40, v40 offset:4
.LBB33_118:
	s_or_saveexec_b64 s[10:11], s[10:11]
	v_mov_b32_e32 v43, v39
	s_xor_b64 exec, exec, s[10:11]
	s_cbranch_execz .LBB33_120
; %bb.119:
	s_waitcnt lgkmcnt(0)
	v_lshl_add_u32 v40, v41, 2, v4
	ds_read_b32 v43, v40 offset:4
	v_mov_b32_e32 v40, v38
.LBB33_120:
	s_or_b64 exec, exec, s[10:11]
	v_add_u32_e32 v44, 1, v42
	v_cndmask_b32_e64 v38, v38, v39, s[8:9]
	v_add_u32_e32 v39, 1, v41
	v_cndmask_b32_e64 v44, v44, v42, s[8:9]
	v_cndmask_b32_e64 v39, v41, v39, s[8:9]
	;; [unrolled: 1-line block ×6, first 2 shown]
	v_cmp_ge_i32_e64 s[0:1], v44, v16
	s_waitcnt lgkmcnt(0)
	v_cmp_gt_i32_e64 s[2:3], v43, v40
	v_cndmask_b32_e32 v18, v18, v19, vcc
	v_cndmask_b32_e32 v19, v23, v20, vcc
	v_cmp_lt_i32_e32 vcc, v39, v17
	s_or_b64 s[0:1], s[0:1], s[2:3]
	s_and_b64 vcc, vcc, s[0:1]
	v_cndmask_b32_e64 v41, v42, v41, s[8:9]
	v_cndmask_b32_e64 v34, v34, v35, s[6:7]
	;; [unrolled: 1-line block ×5, first 2 shown]
	v_cndmask_b32_e32 v17, v44, v39, vcc
	; wave barrier
	ds_write2_b32 v3, v2, v5 offset1:1
	ds_write2_b32 v3, v6, v7 offset0:2 offset1:3
	ds_write2_b32 v3, v8, v9 offset0:4 offset1:5
	ds_write_b32 v3, v10 offset:24
	v_lshl_add_u32 v2, v19, 2, v4
	v_lshl_add_u32 v5, v22, 2, v4
	;; [unrolled: 1-line block ×7, first 2 shown]
	; wave barrier
	ds_read_b32 v2, v2
	ds_read_b32 v5, v5
	ds_read_b32 v6, v6
	ds_read_b32 v7, v7
	ds_read_b32 v8, v8
	ds_read_b32 v9, v9
	ds_read_b32 v10, v10
	v_cndmask_b32_e32 v16, v40, v43, vcc
	; wave barrier
	ds_write2_b32 v3, v18, v21 offset1:1
	ds_write2_b32 v3, v26, v30 offset0:2 offset1:3
	ds_write2_b32 v3, v34, v38 offset0:4 offset1:5
	ds_write_b32 v3, v16 offset:24
	v_and_b32_e32 v16, 16, v11
	v_mul_u32_u24_e32 v22, 7, v16
	v_and_b32_e32 v11, 15, v11
	v_not_b32_e32 v16, 55
	v_mul_u32_u24_e32 v19, 7, v11
	v_mad_u32_u24 v16, v11, 7, v16
	v_cmp_lt_u32_e32 vcc, 7, v11
	v_cndmask_b32_e32 v23, 0, v16, vcc
	v_min_u32_e32 v11, 56, v19
	v_lshl_add_u32 v17, v22, 2, v4
	v_cmp_lt_i32_e32 vcc, v23, v11
	; wave barrier
	s_and_saveexec_b64 s[0:1], vcc
	s_cbranch_execz .LBB33_124
; %bb.121:
	v_lshlrev_b32_e32 v16, 2, v19
	s_movk_i32 s2, 0xe0
	v_add3_u32 v16, v17, v16, s2
	s_mov_b64 s[2:3], 0
.LBB33_122:                             ; =>This Inner Loop Header: Depth=1
	v_sub_u32_e32 v18, v11, v23
	v_lshrrev_b32_e32 v20, 31, v18
	v_add_u32_e32 v18, v18, v20
	v_ashrrev_i32_e32 v18, 1, v18
	v_add_u32_e32 v18, v18, v23
	v_not_b32_e32 v21, v18
	v_lshl_add_u32 v20, v18, 2, v17
	v_lshl_add_u32 v21, v21, 2, v16
	ds_read_b32 v20, v20
	ds_read_b32 v21, v21
	v_add_u32_e32 v24, 1, v18
	s_waitcnt lgkmcnt(0)
	v_cmp_gt_i32_e32 vcc, v21, v20
	v_cndmask_b32_e32 v11, v11, v18, vcc
	v_cndmask_b32_e32 v23, v24, v23, vcc
	v_cmp_ge_i32_e32 vcc, v23, v11
	s_or_b64 s[2:3], vcc, s[2:3]
	s_andn2_b64 exec, exec, s[2:3]
	s_cbranch_execnz .LBB33_122
; %bb.123:
	s_or_b64 exec, exec, s[2:3]
.LBB33_124:
	s_or_b64 exec, exec, s[0:1]
	v_lshl_add_u32 v25, v23, 2, v17
	v_add_u32_e32 v17, v22, v19
	v_sub_u32_e32 v17, v17, v23
	v_lshl_add_u32 v24, v17, 2, v4
	ds_read_b32 v17, v25
	ds_read_b32 v18, v24 offset:224
	v_add_u32_e32 v11, 56, v22
	v_add_u32_e32 v19, v11, v19
	;; [unrolled: 1-line block ×3, first 2 shown]
	v_sub_u32_e32 v19, v19, v23
	v_cmp_lt_i32_e64 s[0:1], 55, v23
	s_waitcnt lgkmcnt(0)
	v_cmp_gt_i32_e64 s[2:3], v18, v17
	v_cmp_gt_i32_e32 vcc, v16, v19
	s_or_b64 s[0:1], s[0:1], s[2:3]
	s_and_b64 vcc, vcc, s[0:1]
	s_xor_b64 s[0:1], vcc, -1
                                        ; implicit-def: $vgpr20
                                        ; implicit-def: $vgpr21
	s_and_saveexec_b64 s[2:3], s[0:1]
	s_xor_b64 s[0:1], exec, s[2:3]
	s_cbranch_execz .LBB33_126
; %bb.125:
	ds_read_b32 v21, v25 offset:4
	v_mov_b32_e32 v20, v18
                                        ; implicit-def: $vgpr24
.LBB33_126:
	s_andn2_saveexec_b64 s[0:1], s[0:1]
	s_cbranch_execz .LBB33_128
; %bb.127:
	ds_read_b32 v20, v24 offset:228
	s_waitcnt lgkmcnt(1)
	v_mov_b32_e32 v21, v17
.LBB33_128:
	s_or_b64 exec, exec, s[0:1]
	v_add_u32_e32 v22, v23, v22
	v_add_u32_e32 v24, 1, v22
	v_add_u32_e32 v23, 1, v19
	v_cndmask_b32_e32 v24, v24, v22, vcc
	v_cndmask_b32_e32 v23, v19, v23, vcc
	v_cmp_ge_i32_e64 s[2:3], v24, v11
	s_waitcnt lgkmcnt(0)
	v_cmp_gt_i32_e64 s[4:5], v20, v21
	v_cmp_lt_i32_e64 s[0:1], v23, v16
	s_or_b64 s[2:3], s[2:3], s[4:5]
	s_and_b64 s[0:1], s[0:1], s[2:3]
	s_xor_b64 s[2:3], s[0:1], -1
                                        ; implicit-def: $vgpr25
	s_and_saveexec_b64 s[4:5], s[2:3]
	s_xor_b64 s[2:3], exec, s[4:5]
	s_cbranch_execz .LBB33_130
; %bb.129:
	v_lshl_add_u32 v25, v24, 2, v4
	ds_read_b32 v25, v25 offset:4
.LBB33_130:
	s_or_saveexec_b64 s[2:3], s[2:3]
	v_mov_b32_e32 v26, v20
	s_xor_b64 exec, exec, s[2:3]
	s_cbranch_execz .LBB33_132
; %bb.131:
	s_waitcnt lgkmcnt(0)
	v_lshl_add_u32 v25, v23, 2, v4
	ds_read_b32 v26, v25 offset:4
	v_mov_b32_e32 v25, v21
.LBB33_132:
	s_or_b64 exec, exec, s[2:3]
	v_add_u32_e32 v28, 1, v24
	v_add_u32_e32 v27, 1, v23
	v_cndmask_b32_e64 v28, v28, v24, s[0:1]
	v_cndmask_b32_e64 v27, v23, v27, s[0:1]
	v_cmp_ge_i32_e64 s[4:5], v28, v11
	s_waitcnt lgkmcnt(0)
	v_cmp_gt_i32_e64 s[6:7], v26, v25
	v_cmp_lt_i32_e64 s[2:3], v27, v16
	s_or_b64 s[4:5], s[4:5], s[6:7]
	s_and_b64 s[2:3], s[2:3], s[4:5]
	s_xor_b64 s[4:5], s[2:3], -1
                                        ; implicit-def: $vgpr29
	s_and_saveexec_b64 s[6:7], s[4:5]
	s_xor_b64 s[4:5], exec, s[6:7]
	s_cbranch_execz .LBB33_134
; %bb.133:
	v_lshl_add_u32 v29, v28, 2, v4
	ds_read_b32 v29, v29 offset:4
.LBB33_134:
	s_or_saveexec_b64 s[4:5], s[4:5]
	v_mov_b32_e32 v30, v26
	s_xor_b64 exec, exec, s[4:5]
	s_cbranch_execz .LBB33_136
; %bb.135:
	s_waitcnt lgkmcnt(0)
	v_lshl_add_u32 v29, v27, 2, v4
	ds_read_b32 v30, v29 offset:4
	v_mov_b32_e32 v29, v25
.LBB33_136:
	s_or_b64 exec, exec, s[4:5]
	v_add_u32_e32 v32, 1, v28
	v_add_u32_e32 v31, 1, v27
	v_cndmask_b32_e64 v32, v32, v28, s[2:3]
	v_cndmask_b32_e64 v31, v27, v31, s[2:3]
	v_cmp_ge_i32_e64 s[6:7], v32, v11
	s_waitcnt lgkmcnt(0)
	v_cmp_gt_i32_e64 s[8:9], v30, v29
	v_cmp_lt_i32_e64 s[4:5], v31, v16
	s_or_b64 s[6:7], s[6:7], s[8:9]
	s_and_b64 s[4:5], s[4:5], s[6:7]
	s_xor_b64 s[6:7], s[4:5], -1
                                        ; implicit-def: $vgpr33
	s_and_saveexec_b64 s[8:9], s[6:7]
	s_xor_b64 s[6:7], exec, s[8:9]
	s_cbranch_execz .LBB33_138
; %bb.137:
	v_lshl_add_u32 v33, v32, 2, v4
	ds_read_b32 v33, v33 offset:4
.LBB33_138:
	s_or_saveexec_b64 s[6:7], s[6:7]
	v_mov_b32_e32 v34, v30
	s_xor_b64 exec, exec, s[6:7]
	s_cbranch_execz .LBB33_140
; %bb.139:
	s_waitcnt lgkmcnt(0)
	v_lshl_add_u32 v33, v31, 2, v4
	ds_read_b32 v34, v33 offset:4
	v_mov_b32_e32 v33, v29
.LBB33_140:
	s_or_b64 exec, exec, s[6:7]
	v_add_u32_e32 v36, 1, v32
	v_add_u32_e32 v35, 1, v31
	v_cndmask_b32_e64 v36, v36, v32, s[4:5]
	v_cndmask_b32_e64 v35, v31, v35, s[4:5]
	v_cmp_ge_i32_e64 s[8:9], v36, v11
	s_waitcnt lgkmcnt(0)
	v_cmp_gt_i32_e64 s[10:11], v34, v33
	v_cmp_lt_i32_e64 s[6:7], v35, v16
	s_or_b64 s[8:9], s[8:9], s[10:11]
	s_and_b64 s[6:7], s[6:7], s[8:9]
	s_xor_b64 s[8:9], s[6:7], -1
                                        ; implicit-def: $vgpr37
	s_and_saveexec_b64 s[10:11], s[8:9]
	s_xor_b64 s[8:9], exec, s[10:11]
	s_cbranch_execz .LBB33_142
; %bb.141:
	v_lshl_add_u32 v37, v36, 2, v4
	ds_read_b32 v37, v37 offset:4
.LBB33_142:
	s_or_saveexec_b64 s[8:9], s[8:9]
	v_mov_b32_e32 v38, v34
	s_xor_b64 exec, exec, s[8:9]
	s_cbranch_execz .LBB33_144
; %bb.143:
	s_waitcnt lgkmcnt(0)
	v_lshl_add_u32 v37, v35, 2, v4
	ds_read_b32 v38, v37 offset:4
	v_mov_b32_e32 v37, v33
.LBB33_144:
	s_or_b64 exec, exec, s[8:9]
	v_add_u32_e32 v41, 1, v36
	v_add_u32_e32 v39, 1, v35
	v_cndmask_b32_e64 v41, v41, v36, s[6:7]
	v_cndmask_b32_e64 v40, v35, v39, s[6:7]
	v_cmp_ge_i32_e64 s[10:11], v41, v11
	s_waitcnt lgkmcnt(0)
	v_cmp_gt_i32_e64 s[12:13], v38, v37
	v_cmp_lt_i32_e64 s[8:9], v40, v16
	s_or_b64 s[10:11], s[10:11], s[12:13]
	s_and_b64 s[8:9], s[8:9], s[10:11]
	s_xor_b64 s[10:11], s[8:9], -1
                                        ; implicit-def: $vgpr39
	s_and_saveexec_b64 s[12:13], s[10:11]
	s_xor_b64 s[10:11], exec, s[12:13]
	s_cbranch_execz .LBB33_146
; %bb.145:
	v_lshl_add_u32 v39, v41, 2, v4
	ds_read_b32 v39, v39 offset:4
.LBB33_146:
	s_or_saveexec_b64 s[10:11], s[10:11]
	v_mov_b32_e32 v42, v38
	s_xor_b64 exec, exec, s[10:11]
	s_cbranch_execz .LBB33_148
; %bb.147:
	s_waitcnt lgkmcnt(0)
	v_lshl_add_u32 v39, v40, 2, v4
	ds_read_b32 v42, v39 offset:4
	v_mov_b32_e32 v39, v37
.LBB33_148:
	s_or_b64 exec, exec, s[10:11]
	v_add_u32_e32 v43, 1, v41
	v_cndmask_b32_e64 v37, v37, v38, s[8:9]
	v_add_u32_e32 v38, 1, v40
	v_cndmask_b32_e64 v43, v43, v41, s[8:9]
	v_cndmask_b32_e64 v38, v40, v38, s[8:9]
	;; [unrolled: 1-line block ×6, first 2 shown]
	v_cmp_ge_i32_e64 s[0:1], v43, v11
	s_waitcnt lgkmcnt(0)
	v_cmp_gt_i32_e64 s[2:3], v42, v39
	v_cndmask_b32_e32 v17, v17, v18, vcc
	v_cndmask_b32_e32 v18, v22, v19, vcc
	v_cmp_lt_i32_e32 vcc, v38, v16
	s_or_b64 s[0:1], s[0:1], s[2:3]
	s_and_b64 vcc, vcc, s[0:1]
	v_cndmask_b32_e64 v40, v41, v40, s[8:9]
	v_cndmask_b32_e64 v33, v33, v34, s[6:7]
	;; [unrolled: 1-line block ×5, first 2 shown]
	v_cndmask_b32_e32 v11, v43, v38, vcc
	; wave barrier
	ds_write2_b32 v3, v2, v5 offset1:1
	ds_write2_b32 v3, v6, v7 offset0:2 offset1:3
	ds_write2_b32 v3, v8, v9 offset0:4 offset1:5
	ds_write_b32 v3, v10 offset:24
	v_lshl_add_u32 v2, v18, 2, v4
	v_lshl_add_u32 v6, v21, 2, v4
	v_lshl_add_u32 v7, v26, 2, v4
	v_lshl_add_u32 v8, v30, 2, v4
	v_lshl_add_u32 v9, v34, 2, v4
	v_lshl_add_u32 v10, v40, 2, v4
	v_lshl_add_u32 v11, v11, 2, v4
	; wave barrier
	ds_read_b32 v5, v2
	ds_read_b32 v6, v6
	;; [unrolled: 1-line block ×7, first 2 shown]
	v_cndmask_b32_e32 v16, v39, v42, vcc
	v_add_u32_e32 v2, 0xffffff90, v0
	v_cmp_lt_u32_e32 vcc, 15, v1
	v_cndmask_b32_e32 v2, 0, v2, vcc
	v_min_i32_e32 v1, 0x70, v0
	v_cmp_lt_i32_e32 vcc, v2, v1
	; wave barrier
	ds_write2_b32 v3, v17, v20 offset1:1
	ds_write2_b32 v3, v25, v29 offset0:2 offset1:3
	ds_write2_b32 v3, v33, v37 offset0:4 offset1:5
	ds_write_b32 v3, v16 offset:24
	; wave barrier
	s_and_saveexec_b64 s[0:1], vcc
	s_cbranch_execz .LBB33_152
; %bb.149:
	v_add_u32_e32 v16, 0x1c0, v3
	s_mov_b64 s[2:3], 0
.LBB33_150:                             ; =>This Inner Loop Header: Depth=1
	v_sub_u32_e32 v17, v1, v2
	v_lshrrev_b32_e32 v18, 31, v17
	v_add_u32_e32 v17, v17, v18
	v_ashrrev_i32_e32 v17, 1, v17
	v_add_u32_e32 v17, v17, v2
	v_not_b32_e32 v19, v17
	v_lshl_add_u32 v18, v17, 2, v4
	v_lshl_add_u32 v19, v19, 2, v16
	ds_read_b32 v18, v18
	ds_read_b32 v19, v19
	v_add_u32_e32 v20, 1, v17
	s_waitcnt lgkmcnt(0)
	v_cmp_gt_i32_e32 vcc, v19, v18
	v_cndmask_b32_e32 v1, v1, v17, vcc
	v_cndmask_b32_e32 v2, v20, v2, vcc
	v_cmp_ge_i32_e32 vcc, v2, v1
	s_or_b64 s[2:3], vcc, s[2:3]
	s_andn2_b64 exec, exec, s[2:3]
	s_cbranch_execnz .LBB33_150
; %bb.151:
	s_or_b64 exec, exec, s[2:3]
.LBB33_152:
	s_or_b64 exec, exec, s[0:1]
	v_sub_u32_e32 v0, v0, v2
	v_lshl_add_u32 v1, v2, 2, v4
	v_add_u32_e32 v18, 0x70, v0
	v_lshl_add_u32 v0, v0, 2, v4
	ds_read_b32 v16, v1
	ds_read_b32 v17, v0 offset:448
	s_movk_i32 s0, 0xe0
	v_cmp_gt_i32_e32 vcc, s0, v18
	s_movk_i32 s0, 0x6f
	v_cmp_lt_i32_e64 s[0:1], s0, v2
	s_waitcnt lgkmcnt(0)
	v_cmp_gt_i32_e64 s[2:3], v17, v16
	s_or_b64 s[0:1], s[0:1], s[2:3]
	s_and_b64 vcc, vcc, s[0:1]
	s_xor_b64 s[0:1], vcc, -1
                                        ; implicit-def: $vgpr19
                                        ; implicit-def: $vgpr20
	s_and_saveexec_b64 s[2:3], s[0:1]
	s_xor_b64 s[0:1], exec, s[2:3]
	s_cbranch_execz .LBB33_154
; %bb.153:
	ds_read_b32 v20, v1 offset:4
	v_mov_b32_e32 v19, v17
                                        ; implicit-def: $vgpr0
.LBB33_154:
	s_andn2_saveexec_b64 s[0:1], s[0:1]
	s_cbranch_execz .LBB33_156
; %bb.155:
	ds_read_b32 v19, v0 offset:452
	s_waitcnt lgkmcnt(1)
	v_mov_b32_e32 v20, v16
.LBB33_156:
	s_or_b64 exec, exec, s[0:1]
	v_add_u32_e32 v1, 1, v2
	v_add_u32_e32 v0, 1, v18
	v_cndmask_b32_e32 v22, v1, v2, vcc
	s_movk_i32 s2, 0x6f
	v_cndmask_b32_e32 v21, v18, v0, vcc
	s_movk_i32 s0, 0xe0
	v_cmp_lt_i32_e64 s[2:3], s2, v22
	s_waitcnt lgkmcnt(0)
	v_cmp_gt_i32_e64 s[4:5], v19, v20
	v_cmp_gt_i32_e64 s[0:1], s0, v21
	s_or_b64 s[2:3], s[2:3], s[4:5]
	s_and_b64 s[0:1], s[0:1], s[2:3]
	s_xor_b64 s[2:3], s[0:1], -1
                                        ; implicit-def: $vgpr23
	s_and_saveexec_b64 s[4:5], s[2:3]
	s_xor_b64 s[2:3], exec, s[4:5]
	s_cbranch_execz .LBB33_158
; %bb.157:
	v_lshl_add_u32 v0, v22, 2, v4
	ds_read_b32 v23, v0 offset:4
.LBB33_158:
	s_or_saveexec_b64 s[2:3], s[2:3]
	v_mov_b32_e32 v24, v19
	s_xor_b64 exec, exec, s[2:3]
	s_cbranch_execz .LBB33_160
; %bb.159:
	v_lshl_add_u32 v0, v21, 2, v4
	ds_read_b32 v24, v0 offset:4
	s_waitcnt lgkmcnt(1)
	v_mov_b32_e32 v23, v20
.LBB33_160:
	s_or_b64 exec, exec, s[2:3]
	v_add_u32_e32 v1, 1, v22
	v_add_u32_e32 v0, 1, v21
	v_cndmask_b32_e64 v26, v1, v22, s[0:1]
	s_movk_i32 s4, 0x6f
	v_cndmask_b32_e64 v25, v21, v0, s[0:1]
	s_movk_i32 s2, 0xe0
	v_cmp_lt_i32_e64 s[4:5], s4, v26
	s_waitcnt lgkmcnt(0)
	v_cmp_gt_i32_e64 s[6:7], v24, v23
	v_cmp_gt_i32_e64 s[2:3], s2, v25
	s_or_b64 s[4:5], s[4:5], s[6:7]
	s_and_b64 s[2:3], s[2:3], s[4:5]
	s_xor_b64 s[4:5], s[2:3], -1
                                        ; implicit-def: $vgpr27
	s_and_saveexec_b64 s[6:7], s[4:5]
	s_xor_b64 s[4:5], exec, s[6:7]
	s_cbranch_execz .LBB33_162
; %bb.161:
	v_lshl_add_u32 v0, v26, 2, v4
	ds_read_b32 v27, v0 offset:4
.LBB33_162:
	s_or_saveexec_b64 s[4:5], s[4:5]
	v_mov_b32_e32 v28, v24
	s_xor_b64 exec, exec, s[4:5]
	s_cbranch_execz .LBB33_164
; %bb.163:
	v_lshl_add_u32 v0, v25, 2, v4
	ds_read_b32 v28, v0 offset:4
	s_waitcnt lgkmcnt(1)
	v_mov_b32_e32 v27, v23
.LBB33_164:
	s_or_b64 exec, exec, s[4:5]
	v_add_u32_e32 v1, 1, v26
	v_add_u32_e32 v0, 1, v25
	v_cndmask_b32_e64 v30, v1, v26, s[2:3]
	s_movk_i32 s6, 0x6f
	v_cndmask_b32_e64 v29, v25, v0, s[2:3]
	s_movk_i32 s4, 0xe0
	v_cmp_lt_i32_e64 s[6:7], s6, v30
	s_waitcnt lgkmcnt(0)
	v_cmp_gt_i32_e64 s[8:9], v28, v27
	v_cmp_gt_i32_e64 s[4:5], s4, v29
	s_or_b64 s[6:7], s[6:7], s[8:9]
	s_and_b64 s[4:5], s[4:5], s[6:7]
	s_xor_b64 s[6:7], s[4:5], -1
                                        ; implicit-def: $vgpr0
	s_and_saveexec_b64 s[8:9], s[6:7]
	s_xor_b64 s[6:7], exec, s[8:9]
	s_cbranch_execz .LBB33_166
; %bb.165:
	v_lshl_add_u32 v0, v30, 2, v4
	ds_read_b32 v0, v0 offset:4
.LBB33_166:
	s_or_saveexec_b64 s[6:7], s[6:7]
	v_mov_b32_e32 v31, v28
	s_xor_b64 exec, exec, s[6:7]
	s_cbranch_execz .LBB33_168
; %bb.167:
	s_waitcnt lgkmcnt(0)
	v_lshl_add_u32 v0, v29, 2, v4
	ds_read_b32 v31, v0 offset:4
	v_mov_b32_e32 v0, v27
.LBB33_168:
	s_or_b64 exec, exec, s[6:7]
	v_add_u32_e32 v33, 1, v30
	v_add_u32_e32 v1, 1, v29
	v_cndmask_b32_e64 v33, v33, v30, s[4:5]
	s_movk_i32 s8, 0x6f
	v_cndmask_b32_e64 v32, v29, v1, s[4:5]
	s_movk_i32 s6, 0xe0
	v_cmp_lt_i32_e64 s[8:9], s8, v33
	s_waitcnt lgkmcnt(0)
	v_cmp_gt_i32_e64 s[10:11], v31, v0
	v_cmp_gt_i32_e64 s[6:7], s6, v32
	s_or_b64 s[8:9], s[8:9], s[10:11]
	s_and_b64 s[6:7], s[6:7], s[8:9]
	s_xor_b64 s[8:9], s[6:7], -1
                                        ; implicit-def: $vgpr35
	s_and_saveexec_b64 s[10:11], s[8:9]
	s_xor_b64 s[8:9], exec, s[10:11]
	s_cbranch_execz .LBB33_170
; %bb.169:
	v_lshl_add_u32 v1, v33, 2, v4
	ds_read_b32 v35, v1 offset:4
.LBB33_170:
	s_or_saveexec_b64 s[8:9], s[8:9]
	v_mov_b32_e32 v34, v31
	s_xor_b64 exec, exec, s[8:9]
	s_cbranch_execz .LBB33_172
; %bb.171:
	v_lshl_add_u32 v1, v32, 2, v4
	ds_read_b32 v34, v1 offset:4
	s_waitcnt lgkmcnt(1)
	v_mov_b32_e32 v35, v0
.LBB33_172:
	s_or_b64 exec, exec, s[8:9]
	v_add_u32_e32 v37, 1, v33
	v_add_u32_e32 v1, 1, v32
	v_cndmask_b32_e64 v39, v37, v33, s[6:7]
	s_movk_i32 s10, 0x70
	v_cndmask_b32_e64 v36, v32, v1, s[6:7]
	s_movk_i32 s8, 0xdf
	v_cmp_gt_i32_e64 s[10:11], s10, v39
	s_waitcnt lgkmcnt(0)
	v_cmp_le_i32_e64 s[12:13], v34, v35
	v_cmp_lt_i32_e64 s[8:9], s8, v36
	s_and_b64 s[10:11], s[10:11], s[12:13]
	s_or_b64 s[8:9], s[8:9], s[10:11]
                                        ; implicit-def: $vgpr38
                                        ; implicit-def: $vgpr37
	s_and_saveexec_b64 s[10:11], s[8:9]
	s_xor_b64 s[8:9], exec, s[10:11]
	s_cbranch_execz .LBB33_174
; %bb.173:
	v_lshl_add_u32 v1, v39, 2, v4
	ds_read_b32 v38, v1 offset:4
	v_add_u32_e32 v37, 1, v39
.LBB33_174:
	s_or_saveexec_b64 s[8:9], s[8:9]
	v_mov_b32_e32 v1, v35
	v_mov_b32_e32 v40, v39
	s_xor_b64 exec, exec, s[8:9]
	s_cbranch_execz .LBB33_176
; %bb.175:
	v_lshl_add_u32 v1, v36, 2, v4
	ds_read_b32 v41, v1 offset:4
	s_waitcnt lgkmcnt(1)
	v_add_u32_e32 v38, 1, v36
	v_mov_b32_e32 v1, v34
	v_mov_b32_e32 v40, v36
	;; [unrolled: 1-line block ×5, first 2 shown]
	s_waitcnt lgkmcnt(0)
	v_mov_b32_e32 v34, v41
.LBB33_176:
	s_or_b64 exec, exec, s[8:9]
	v_cndmask_b32_e64 v42, v23, v24, s[2:3]
	v_cndmask_b32_e64 v23, v26, v25, s[2:3]
	s_movk_i32 s2, 0x6f
	v_cndmask_b32_e64 v43, v27, v28, s[4:5]
	v_cndmask_b32_e64 v41, v20, v19, s[0:1]
	;; [unrolled: 1-line block ×4, first 2 shown]
	s_movk_i32 s0, 0xe0
	v_cmp_lt_i32_e64 s[2:3], s2, v37
	s_waitcnt lgkmcnt(0)
	v_cmp_gt_i32_e64 s[4:5], v34, v38
	v_cmp_gt_i32_e64 s[0:1], s0, v36
	s_or_b64 s[2:3], s[2:3], s[4:5]
	s_and_b64 s[0:1], s[0:1], s[2:3]
	v_cndmask_b32_e64 v19, v33, v32, s[6:7]
	v_cndmask_b32_e32 v18, v2, v18, vcc
	v_cndmask_b32_e64 v22, v37, v36, s[0:1]
	; wave barrier
	ds_write2_b32 v3, v5, v6 offset1:1
	ds_write2_b32 v3, v7, v8 offset0:2 offset1:3
	ds_write2_b32 v3, v9, v10 offset0:4 offset1:5
	ds_write_b32 v3, v11 offset:24
	v_lshl_add_u32 v3, v18, 2, v4
	v_lshl_add_u32 v5, v21, 2, v4
	;; [unrolled: 1-line block ×7, first 2 shown]
	; wave barrier
	ds_read_b32 v4, v3
	ds_read_b32 v5, v5
	;; [unrolled: 1-line block ×7, first 2 shown]
	v_cndmask_b32_e32 v40, v16, v17, vcc
	v_cndmask_b32_e64 v0, v0, v31, s[6:7]
	v_cndmask_b32_e64 v2, v38, v34, s[0:1]
	global_store_dwordx4 v[14:15], v[40:43], off
	global_store_dwordx3 v[14:15], v[0:2], off offset:16
	s_waitcnt lgkmcnt(3)
	global_store_dwordx4 v[12:13], v[4:7], off
	s_waitcnt lgkmcnt(0)
	global_store_dwordx3 v[12:13], v[8:10], off offset:16
	s_endpgm
	.section	.rodata,"a",@progbits
	.p2align	6, 0x0
	.amdhsa_kernel _Z21sort_keys_values_fullILj256ELj32ELj7ELb0EiN10test_utils16custom_test_typeIsEENS0_7greaterEEvPT3_PT4_T5_
		.amdhsa_group_segment_fixed_size 7200
		.amdhsa_private_segment_fixed_size 0
		.amdhsa_kernarg_size 20
		.amdhsa_user_sgpr_count 6
		.amdhsa_user_sgpr_private_segment_buffer 1
		.amdhsa_user_sgpr_dispatch_ptr 0
		.amdhsa_user_sgpr_queue_ptr 0
		.amdhsa_user_sgpr_kernarg_segment_ptr 1
		.amdhsa_user_sgpr_dispatch_id 0
		.amdhsa_user_sgpr_flat_scratch_init 0
		.amdhsa_user_sgpr_kernarg_preload_length 0
		.amdhsa_user_sgpr_kernarg_preload_offset 0
		.amdhsa_user_sgpr_private_segment_size 0
		.amdhsa_uses_dynamic_stack 0
		.amdhsa_system_sgpr_private_segment_wavefront_offset 0
		.amdhsa_system_sgpr_workgroup_id_x 1
		.amdhsa_system_sgpr_workgroup_id_y 0
		.amdhsa_system_sgpr_workgroup_id_z 0
		.amdhsa_system_sgpr_workgroup_info 0
		.amdhsa_system_vgpr_workitem_id 0
		.amdhsa_next_free_vgpr 45
		.amdhsa_next_free_sgpr 20
		.amdhsa_accum_offset 48
		.amdhsa_reserve_vcc 1
		.amdhsa_reserve_flat_scratch 0
		.amdhsa_float_round_mode_32 0
		.amdhsa_float_round_mode_16_64 0
		.amdhsa_float_denorm_mode_32 3
		.amdhsa_float_denorm_mode_16_64 3
		.amdhsa_dx10_clamp 1
		.amdhsa_ieee_mode 1
		.amdhsa_fp16_overflow 0
		.amdhsa_tg_split 0
		.amdhsa_exception_fp_ieee_invalid_op 0
		.amdhsa_exception_fp_denorm_src 0
		.amdhsa_exception_fp_ieee_div_zero 0
		.amdhsa_exception_fp_ieee_overflow 0
		.amdhsa_exception_fp_ieee_underflow 0
		.amdhsa_exception_fp_ieee_inexact 0
		.amdhsa_exception_int_div_zero 0
	.end_amdhsa_kernel
	.section	.text._Z21sort_keys_values_fullILj256ELj32ELj7ELb0EiN10test_utils16custom_test_typeIsEENS0_7greaterEEvPT3_PT4_T5_,"axG",@progbits,_Z21sort_keys_values_fullILj256ELj32ELj7ELb0EiN10test_utils16custom_test_typeIsEENS0_7greaterEEvPT3_PT4_T5_,comdat
.Lfunc_end33:
	.size	_Z21sort_keys_values_fullILj256ELj32ELj7ELb0EiN10test_utils16custom_test_typeIsEENS0_7greaterEEvPT3_PT4_T5_, .Lfunc_end33-_Z21sort_keys_values_fullILj256ELj32ELj7ELb0EiN10test_utils16custom_test_typeIsEENS0_7greaterEEvPT3_PT4_T5_
                                        ; -- End function
	.section	.AMDGPU.csdata,"",@progbits
; Kernel info:
; codeLenInByte = 8032
; NumSgprs: 24
; NumVgprs: 45
; NumAgprs: 0
; TotalNumVgprs: 45
; ScratchSize: 0
; MemoryBound: 0
; FloatMode: 240
; IeeeMode: 1
; LDSByteSize: 7200 bytes/workgroup (compile time only)
; SGPRBlocks: 2
; VGPRBlocks: 5
; NumSGPRsForWavesPerEU: 24
; NumVGPRsForWavesPerEU: 45
; AccumOffset: 48
; Occupancy: 8
; WaveLimiterHint : 0
; COMPUTE_PGM_RSRC2:SCRATCH_EN: 0
; COMPUTE_PGM_RSRC2:USER_SGPR: 6
; COMPUTE_PGM_RSRC2:TRAP_HANDLER: 0
; COMPUTE_PGM_RSRC2:TGID_X_EN: 1
; COMPUTE_PGM_RSRC2:TGID_Y_EN: 0
; COMPUTE_PGM_RSRC2:TGID_Z_EN: 0
; COMPUTE_PGM_RSRC2:TIDIG_COMP_CNT: 0
; COMPUTE_PGM_RSRC3_GFX90A:ACCUM_OFFSET: 11
; COMPUTE_PGM_RSRC3_GFX90A:TG_SPLIT: 0
	.section	.text._Z21sort_keys_values_fullILj256ELj8ELj4ELb1ExsN10test_utils4lessEEvPT3_PT4_T5_,"axG",@progbits,_Z21sort_keys_values_fullILj256ELj8ELj4ELb1ExsN10test_utils4lessEEvPT3_PT4_T5_,comdat
	.protected	_Z21sort_keys_values_fullILj256ELj8ELj4ELb1ExsN10test_utils4lessEEvPT3_PT4_T5_ ; -- Begin function _Z21sort_keys_values_fullILj256ELj8ELj4ELb1ExsN10test_utils4lessEEvPT3_PT4_T5_
	.globl	_Z21sort_keys_values_fullILj256ELj8ELj4ELb1ExsN10test_utils4lessEEvPT3_PT4_T5_
	.p2align	8
	.type	_Z21sort_keys_values_fullILj256ELj8ELj4ELb1ExsN10test_utils4lessEEvPT3_PT4_T5_,@function
_Z21sort_keys_values_fullILj256ELj8ELj4ELb1ExsN10test_utils4lessEEvPT3_PT4_T5_: ; @_Z21sort_keys_values_fullILj256ELj8ELj4ELb1ExsN10test_utils4lessEEvPT3_PT4_T5_
; %bb.0:
	s_load_dwordx4 s[0:3], s[4:5], 0x0
	s_lshl_b32 s4, s6, 10
	s_mov_b32 s5, 0
	s_lshl_b64 s[6:7], s[4:5], 3
	v_lshlrev_b32_e32 v1, 5, v0
	s_waitcnt lgkmcnt(0)
	s_add_u32 s0, s0, s6
	s_addc_u32 s1, s1, s7
	global_load_dwordx4 v[6:9], v1, s[0:1]
	global_load_dwordx4 v[2:5], v1, s[0:1] offset:16
	s_lshl_b64 s[4:5], s[4:5], 1
	s_add_u32 s2, s2, s4
	v_lshlrev_b32_e32 v12, 3, v0
	s_addc_u32 s3, s3, s5
	global_load_dwordx2 v[14:15], v12, s[2:3]
	v_mbcnt_lo_u32_b32 v10, -1, 0
	v_lshrrev_b32_e32 v24, 3, v0
	v_mbcnt_hi_u32_b32 v0, -1, v10
	v_lshlrev_b32_e32 v43, 2, v0
	v_and_b32_e32 v32, 24, v43
	v_and_b32_e32 v41, 28, v43
	v_or_b32_e32 v44, 4, v32
	v_add_u32_e32 v45, 8, v32
	s_movk_i32 s4, 0x108
	v_and_b32_e32 v28, 4, v43
	v_lshlrev_b32_e32 v0, 3, v41
	v_lshlrev_b32_e32 v10, 3, v32
	v_sub_u32_e32 v11, v45, v44
	v_mad_u32_u24 v42, v24, s4, v0
	v_sub_u32_e32 v0, v44, v32
	v_mad_u32_u24 v25, v24, s4, v10
	v_sub_u32_e32 v10, v28, v11
	v_cmp_ge_i32_e32 vcc, v28, v11
	v_min_i32_e32 v26, v28, v0
	v_cndmask_b32_e32 v33, 0, v10, vcc
	v_mov_b32_e32 v0, s1
	v_add_co_u32_e32 v10, vcc, s0, v1
	v_addc_co_u32_e32 v11, vcc, 0, v0, vcc
	v_mov_b32_e32 v0, s3
	v_add_co_u32_e32 v12, vcc, s2, v12
	v_addc_co_u32_e32 v13, vcc, 0, v0, vcc
	; wave barrier
	s_waitcnt vmcnt(2)
	v_cmp_gt_i64_e64 s[0:1], v[8:9], v[6:7]
	s_waitcnt vmcnt(1)
	v_cmp_lt_i64_e64 s[2:3], v[4:5], v[2:3]
	v_cmp_lt_i64_e32 vcc, v[8:9], v[6:7]
	v_cndmask_b32_e64 v1, v7, v9, s[0:1]
	v_cndmask_b32_e64 v19, v3, v5, s[2:3]
	;; [unrolled: 1-line block ×4, first 2 shown]
	v_cndmask_b32_e32 v21, v7, v9, vcc
	v_cmp_gt_i64_e64 s[4:5], v[4:5], v[2:3]
	v_cndmask_b32_e32 v20, v6, v8, vcc
	v_cmp_gt_i64_e32 vcc, v[18:19], v[0:1]
	v_cndmask_b32_e64 v17, v3, v5, s[4:5]
	v_cndmask_b32_e64 v16, v2, v4, s[4:5]
	v_cndmask_b32_e32 v31, v1, v19, vcc
	v_cmp_lt_i64_e64 s[0:1], v[18:19], v[0:1]
	v_cndmask_b32_e32 v30, v0, v18, vcc
	v_cndmask_b32_e64 v22, v0, v18, s[0:1]
	v_cndmask_b32_e64 v23, v1, v19, s[0:1]
	v_cmp_lt_i64_e32 vcc, v[18:19], v[20:21]
	v_cmp_lt_i64_e64 s[0:1], v[16:17], v[30:31]
	v_cndmask_b32_e32 v35, v21, v23, vcc
	v_cndmask_b32_e32 v34, v20, v22, vcc
	v_cndmask_b32_e32 v21, v23, v21, vcc
	v_cndmask_b32_e32 v20, v22, v20, vcc
	v_cndmask_b32_e64 v23, v31, v17, s[0:1]
	v_cndmask_b32_e64 v22, v30, v16, s[0:1]
	v_cmp_gt_i64_e64 s[2:3], v[16:17], v[30:31]
	v_cmp_lt_i64_e64 s[0:1], v[22:23], v[20:21]
	v_cndmask_b32_e64 v31, v31, v17, s[2:3]
	v_cndmask_b32_e64 v30, v30, v16, s[2:3]
	;; [unrolled: 1-line block ×3, first 2 shown]
	v_cmp_gt_i64_e64 s[2:3], v[22:23], v[20:21]
	v_cndmask_b32_e64 v36, v20, v22, s[0:1]
	v_cmp_lt_i32_e64 s[0:1], v33, v26
	v_cndmask_b32_e64 v39, v21, v23, s[2:3]
	v_cndmask_b32_e64 v38, v20, v22, s[2:3]
	ds_write2_b64 v42, v[34:35], v[36:37] offset1:1
	ds_write2_b64 v42, v[38:39], v[30:31] offset0:2 offset1:3
	; wave barrier
	s_and_saveexec_b64 s[2:3], s[0:1]
	s_cbranch_execz .LBB34_4
; %bb.1:
	v_lshlrev_b32_e32 v27, 3, v28
	v_add3_u32 v27, v25, v27, 32
	s_mov_b64 s[4:5], 0
.LBB34_2:                               ; =>This Inner Loop Header: Depth=1
	v_sub_u32_e32 v29, v26, v33
	v_lshrrev_b32_e32 v30, 31, v29
	v_add_u32_e32 v29, v29, v30
	v_ashrrev_i32_e32 v29, 1, v29
	v_add_u32_e32 v29, v29, v33
	v_not_b32_e32 v31, v29
	v_lshl_add_u32 v30, v29, 3, v25
	v_lshl_add_u32 v34, v31, 3, v27
	ds_read_b64 v[30:31], v30
	ds_read_b64 v[34:35], v34
	v_add_u32_e32 v36, 1, v29
	s_waitcnt lgkmcnt(0)
	v_cmp_lt_i64_e64 s[0:1], v[34:35], v[30:31]
	v_cndmask_b32_e64 v26, v26, v29, s[0:1]
	v_cndmask_b32_e64 v33, v36, v33, s[0:1]
	v_cmp_ge_i32_e64 s[0:1], v33, v26
	s_or_b64 s[4:5], s[0:1], s[4:5]
	s_andn2_b64 exec, exec, s[4:5]
	s_cbranch_execnz .LBB34_2
; %bb.3:
	s_or_b64 exec, exec, s[4:5]
.LBB34_4:
	s_or_b64 exec, exec, s[2:3]
	v_mul_u32_u24_e32 v40, 0x108, v24
	v_add_u32_e32 v24, v32, v28
	v_lshl_add_u32 v30, v33, 3, v25
	v_sub_u32_e32 v24, v24, v33
	v_lshl_add_u32 v34, v24, 3, v40
	ds_read_b64 v[24:25], v30
	ds_read_b64 v[26:27], v34 offset:32
	v_add_u32_e32 v28, v44, v28
	v_sub_u32_e32 v46, v28, v33
	v_cmp_lt_i32_e64 s[2:3], 3, v33
	v_cmp_gt_i32_e64 s[0:1], v45, v46
	s_waitcnt lgkmcnt(0)
	v_cmp_lt_i64_e64 s[4:5], v[26:27], v[24:25]
	s_or_b64 s[2:3], s[2:3], s[4:5]
	s_and_b64 s[0:1], s[0:1], s[2:3]
	s_xor_b64 s[2:3], s[0:1], -1
                                        ; implicit-def: $vgpr28_vgpr29
	s_and_saveexec_b64 s[4:5], s[2:3]
	s_xor_b64 s[2:3], exec, s[4:5]
	s_cbranch_execz .LBB34_6
; %bb.5:
	ds_read_b64 v[28:29], v30 offset:8
                                        ; implicit-def: $vgpr34
.LBB34_6:
	s_or_saveexec_b64 s[2:3], s[2:3]
	v_pk_mov_b32 v[30:31], v[26:27], v[26:27] op_sel:[0,1]
	s_xor_b64 exec, exec, s[2:3]
	s_cbranch_execz .LBB34_8
; %bb.7:
	ds_read_b64 v[30:31], v34 offset:40
	s_waitcnt lgkmcnt(1)
	v_pk_mov_b32 v[28:29], v[24:25], v[24:25] op_sel:[0,1]
.LBB34_8:
	s_or_b64 exec, exec, s[2:3]
	v_add_u32_e32 v47, v33, v32
	v_add_u32_e32 v33, 1, v47
	;; [unrolled: 1-line block ×3, first 2 shown]
	v_cndmask_b32_e64 v49, v33, v47, s[0:1]
	v_cndmask_b32_e64 v48, v46, v32, s[0:1]
	v_cmp_ge_i32_e64 s[4:5], v49, v44
	s_waitcnt lgkmcnt(0)
	v_cmp_lt_i64_e64 s[6:7], v[30:31], v[28:29]
	v_cmp_lt_i32_e64 s[2:3], v48, v45
	s_or_b64 s[4:5], s[4:5], s[6:7]
	s_and_b64 s[2:3], s[2:3], s[4:5]
	s_xor_b64 s[4:5], s[2:3], -1
                                        ; implicit-def: $vgpr34_vgpr35
	s_and_saveexec_b64 s[6:7], s[4:5]
	s_xor_b64 s[4:5], exec, s[6:7]
	s_cbranch_execz .LBB34_10
; %bb.9:
	v_lshl_add_u32 v32, v49, 3, v40
	ds_read_b64 v[34:35], v32 offset:8
.LBB34_10:
	s_or_saveexec_b64 s[4:5], s[4:5]
	v_pk_mov_b32 v[38:39], v[30:31], v[30:31] op_sel:[0,1]
	s_xor_b64 exec, exec, s[4:5]
	s_cbranch_execz .LBB34_12
; %bb.11:
	v_lshl_add_u32 v32, v48, 3, v40
	ds_read_b64 v[38:39], v32 offset:8
	s_waitcnt lgkmcnt(1)
	v_pk_mov_b32 v[34:35], v[28:29], v[28:29] op_sel:[0,1]
.LBB34_12:
	s_or_b64 exec, exec, s[4:5]
	v_add_u32_e32 v33, 1, v49
	v_add_u32_e32 v32, 1, v48
	v_cndmask_b32_e64 v51, v33, v49, s[2:3]
	v_cndmask_b32_e64 v50, v48, v32, s[2:3]
	v_cmp_ge_i32_e64 s[6:7], v51, v44
	s_waitcnt lgkmcnt(0)
	v_cmp_lt_i64_e64 s[8:9], v[38:39], v[34:35]
	v_cmp_lt_i32_e64 s[4:5], v50, v45
	s_or_b64 s[6:7], s[6:7], s[8:9]
	s_and_b64 s[4:5], s[4:5], s[6:7]
	s_xor_b64 s[6:7], s[4:5], -1
                                        ; implicit-def: $vgpr32_vgpr33
	s_and_saveexec_b64 s[8:9], s[6:7]
	s_xor_b64 s[6:7], exec, s[8:9]
	s_cbranch_execz .LBB34_14
; %bb.13:
	v_lshl_add_u32 v32, v51, 3, v40
	ds_read_b64 v[32:33], v32 offset:8
.LBB34_14:
	s_or_saveexec_b64 s[6:7], s[6:7]
	v_pk_mov_b32 v[36:37], v[38:39], v[38:39] op_sel:[0,1]
	s_xor_b64 exec, exec, s[6:7]
	s_cbranch_execz .LBB34_16
; %bb.15:
	s_waitcnt lgkmcnt(0)
	v_lshl_add_u32 v32, v50, 3, v40
	ds_read_b64 v[36:37], v32 offset:8
	v_pk_mov_b32 v[32:33], v[34:35], v[34:35] op_sel:[0,1]
.LBB34_16:
	s_or_b64 exec, exec, s[6:7]
	v_cndmask_b32_e64 v27, v25, v27, s[0:1]
	v_cndmask_b32_e64 v26, v24, v26, s[0:1]
	;; [unrolled: 1-line block ×3, first 2 shown]
	s_waitcnt vmcnt(0)
	v_alignbit_b32 v25, v14, v14, 16
	v_cmp_lt_i64_e64 s[0:1], v[8:9], v[6:7]
	v_cndmask_b32_e64 v6, v14, v25, s[0:1]
	v_alignbit_b32 v7, v15, v15, 16
	v_cmp_lt_i64_e64 s[0:1], v[4:5], v[2:3]
	v_cndmask_b32_e64 v29, v29, v31, s[2:3]
	v_cndmask_b32_e64 v28, v28, v30, s[2:3]
	;; [unrolled: 1-line block ×4, first 2 shown]
	s_mov_b32 s2, 0x5040100
	v_perm_b32 v3, v2, v6, s2
	s_mov_b32 s3, 0x7060302
	v_cmp_lt_i64_e64 s[0:1], v[18:19], v[0:1]
	v_perm_b32 v4, v2, v6, s3
	v_cndmask_b32_e64 v3, v6, v3, s[0:1]
	v_cndmask_b32_e64 v2, v2, v4, s[0:1]
	v_alignbit_b32 v4, v3, v3, 16
	v_cndmask_b32_e64 v35, v35, v39, s[4:5]
	v_add_u32_e32 v39, 1, v51
	v_cndmask_b32_e32 v3, v3, v4, vcc
	v_alignbit_b32 v4, v2, v2, 16
	v_cmp_gt_i64_e32 vcc, v[0:1], v[16:17]
	v_cndmask_b32_e64 v34, v34, v38, s[4:5]
	v_add_u32_e32 v38, 1, v50
	v_cndmask_b32_e64 v39, v39, v51, s[4:5]
	v_cndmask_b32_e32 v0, v2, v4, vcc
	v_cndmask_b32_e64 v38, v50, v38, s[4:5]
	v_perm_b32 v2, v0, v3, s2
	v_perm_b32 v1, v0, v3, s3
	v_cmp_lt_i64_e32 vcc, v[22:23], v[20:21]
	v_cmp_ge_i32_e64 s[0:1], v39, v44
	s_waitcnt lgkmcnt(0)
	v_cmp_lt_i64_e64 s[2:3], v[36:37], v[32:33]
	v_cndmask_b32_e32 v1, v0, v1, vcc
	v_cndmask_b32_e32 v0, v3, v2, vcc
	v_cmp_lt_i32_e32 vcc, v38, v45
	s_or_b64 s[0:1], s[0:1], s[2:3]
	s_and_b64 vcc, vcc, s[0:1]
	v_mad_i32_i24 v5, v41, -6, v42
	v_cndmask_b32_e64 v50, v51, v50, s[4:5]
	v_cndmask_b32_e32 v4, v39, v38, vcc
	; wave barrier
	ds_write_b64 v5, v[0:1]
	v_lshl_add_u32 v0, v24, 1, v40
	; wave barrier
	v_lshl_add_u32 v1, v30, 1, v40
	v_lshl_add_u32 v5, v50, 1, v40
	v_lshl_add_u32 v4, v4, 1, v40
	ds_read_u16 v21, v0
	ds_read_u16 v22, v1
	;; [unrolled: 1-line block ×4, first 2 shown]
	v_and_b32_e32 v8, 16, v43
	v_cndmask_b32_e32 v2, v32, v36, vcc
	v_or_b32_e32 v20, 8, v8
	v_add_u32_e32 v25, 16, v8
	v_cndmask_b32_e32 v3, v33, v37, vcc
	; wave barrier
	ds_write2_b64 v42, v[26:27], v[28:29] offset1:1
	ds_write2_b64 v42, v[34:35], v[2:3] offset0:2 offset1:3
	v_and_b32_e32 v4, 12, v43
	v_sub_u32_e32 v2, v25, v20
	v_sub_u32_e32 v1, v20, v8
	;; [unrolled: 1-line block ×3, first 2 shown]
	v_cmp_ge_i32_e32 vcc, v4, v2
	v_cndmask_b32_e32 v9, 0, v3, vcc
	v_min_i32_e32 v1, v4, v1
	v_lshl_add_u32 v0, v8, 3, v40
	v_cmp_lt_i32_e32 vcc, v9, v1
	; wave barrier
	s_and_saveexec_b64 s[0:1], vcc
	s_cbranch_execz .LBB34_20
; %bb.17:
	v_lshlrev_b32_e32 v2, 3, v4
	v_add3_u32 v2, v0, v2, 64
	s_mov_b64 s[2:3], 0
.LBB34_18:                              ; =>This Inner Loop Header: Depth=1
	v_sub_u32_e32 v3, v1, v9
	v_lshrrev_b32_e32 v5, 31, v3
	v_add_u32_e32 v3, v3, v5
	v_ashrrev_i32_e32 v3, 1, v3
	v_add_u32_e32 v3, v3, v9
	v_not_b32_e32 v6, v3
	v_lshl_add_u32 v5, v3, 3, v0
	v_lshl_add_u32 v14, v6, 3, v2
	ds_read_b64 v[6:7], v5
	ds_read_b64 v[14:15], v14
	v_add_u32_e32 v5, 1, v3
	s_waitcnt lgkmcnt(0)
	v_cmp_lt_i64_e32 vcc, v[14:15], v[6:7]
	v_cndmask_b32_e32 v1, v1, v3, vcc
	v_cndmask_b32_e32 v9, v5, v9, vcc
	v_cmp_ge_i32_e32 vcc, v9, v1
	s_or_b64 s[2:3], vcc, s[2:3]
	s_andn2_b64 exec, exec, s[2:3]
	s_cbranch_execnz .LBB34_18
; %bb.19:
	s_or_b64 exec, exec, s[2:3]
.LBB34_20:
	s_or_b64 exec, exec, s[0:1]
	v_lshl_add_u32 v6, v9, 3, v0
	v_add_u32_e32 v0, v8, v4
	v_sub_u32_e32 v0, v0, v9
	v_lshl_add_u32 v14, v0, 3, v40
	ds_read_b64 v[0:1], v6
	ds_read_b64 v[2:3], v14 offset:64
	v_add_u32_e32 v4, v20, v4
	v_sub_u32_e32 v27, v4, v9
	v_cmp_lt_i32_e64 s[0:1], 7, v9
	v_cmp_gt_i32_e32 vcc, v25, v27
	s_waitcnt lgkmcnt(0)
	v_cmp_lt_i64_e64 s[2:3], v[2:3], v[0:1]
	s_or_b64 s[0:1], s[0:1], s[2:3]
	s_and_b64 vcc, vcc, s[0:1]
	v_mul_i32_i24_e32 v26, -6, v41
	s_xor_b64 s[0:1], vcc, -1
                                        ; implicit-def: $vgpr4_vgpr5
	s_and_saveexec_b64 s[2:3], s[0:1]
	s_xor_b64 s[0:1], exec, s[2:3]
	s_cbranch_execz .LBB34_22
; %bb.21:
	ds_read_b64 v[4:5], v6 offset:8
                                        ; implicit-def: $vgpr14
.LBB34_22:
	s_or_saveexec_b64 s[0:1], s[0:1]
	v_pk_mov_b32 v[6:7], v[2:3], v[2:3] op_sel:[0,1]
	s_xor_b64 exec, exec, s[0:1]
	s_cbranch_execz .LBB34_24
; %bb.23:
	ds_read_b64 v[6:7], v14 offset:72
	s_waitcnt lgkmcnt(1)
	v_pk_mov_b32 v[4:5], v[0:1], v[0:1] op_sel:[0,1]
.LBB34_24:
	s_or_b64 exec, exec, s[0:1]
	v_add_u32_e32 v28, v9, v8
	v_add_u32_e32 v9, 1, v28
	;; [unrolled: 1-line block ×3, first 2 shown]
	v_cndmask_b32_e32 v30, v9, v28, vcc
	v_cndmask_b32_e32 v29, v27, v8, vcc
	v_cmp_ge_i32_e64 s[2:3], v30, v20
	s_waitcnt lgkmcnt(0)
	v_cmp_lt_i64_e64 s[4:5], v[6:7], v[4:5]
	v_cmp_lt_i32_e64 s[0:1], v29, v25
	s_or_b64 s[2:3], s[2:3], s[4:5]
	s_and_b64 s[0:1], s[0:1], s[2:3]
	s_xor_b64 s[2:3], s[0:1], -1
                                        ; implicit-def: $vgpr8_vgpr9
	s_and_saveexec_b64 s[4:5], s[2:3]
	s_xor_b64 s[2:3], exec, s[4:5]
	s_cbranch_execz .LBB34_26
; %bb.25:
	v_lshl_add_u32 v8, v30, 3, v40
	ds_read_b64 v[8:9], v8 offset:8
.LBB34_26:
	s_or_saveexec_b64 s[2:3], s[2:3]
	v_pk_mov_b32 v[14:15], v[6:7], v[6:7] op_sel:[0,1]
	s_xor_b64 exec, exec, s[2:3]
	s_cbranch_execz .LBB34_28
; %bb.27:
	s_waitcnt lgkmcnt(0)
	v_lshl_add_u32 v8, v29, 3, v40
	ds_read_b64 v[14:15], v8 offset:8
	v_pk_mov_b32 v[8:9], v[4:5], v[4:5] op_sel:[0,1]
.LBB34_28:
	s_or_b64 exec, exec, s[2:3]
	v_add_u32_e32 v17, 1, v30
	v_add_u32_e32 v16, 1, v29
	v_cndmask_b32_e64 v32, v17, v30, s[0:1]
	v_cndmask_b32_e64 v31, v29, v16, s[0:1]
	v_cmp_ge_i32_e64 s[4:5], v32, v20
	s_waitcnt lgkmcnt(0)
	v_cmp_lt_i64_e64 s[6:7], v[14:15], v[8:9]
	v_cmp_lt_i32_e64 s[2:3], v31, v25
	s_or_b64 s[4:5], s[4:5], s[6:7]
	s_and_b64 s[2:3], s[2:3], s[4:5]
	s_xor_b64 s[4:5], s[2:3], -1
                                        ; implicit-def: $vgpr16_vgpr17
	s_and_saveexec_b64 s[6:7], s[4:5]
	s_xor_b64 s[4:5], exec, s[6:7]
	s_cbranch_execz .LBB34_30
; %bb.29:
	v_lshl_add_u32 v16, v32, 3, v40
	ds_read_b64 v[16:17], v16 offset:8
.LBB34_30:
	s_or_saveexec_b64 s[4:5], s[4:5]
	v_pk_mov_b32 v[18:19], v[14:15], v[14:15] op_sel:[0,1]
	s_xor_b64 exec, exec, s[4:5]
	s_cbranch_execz .LBB34_32
; %bb.31:
	s_waitcnt lgkmcnt(0)
	v_lshl_add_u32 v16, v31, 3, v40
	ds_read_b64 v[18:19], v16 offset:8
	v_pk_mov_b32 v[16:17], v[8:9], v[8:9] op_sel:[0,1]
.LBB34_32:
	s_or_b64 exec, exec, s[4:5]
	v_cndmask_b32_e64 v9, v9, v15, s[2:3]
	v_add_u32_e32 v15, 1, v32
	v_cndmask_b32_e64 v8, v8, v14, s[2:3]
	v_add_u32_e32 v14, 1, v31
	v_cndmask_b32_e64 v15, v15, v32, s[2:3]
	v_cndmask_b32_e64 v14, v31, v14, s[2:3]
	;; [unrolled: 1-line block ×6, first 2 shown]
	v_cmp_ge_i32_e64 s[0:1], v15, v20
	s_waitcnt lgkmcnt(0)
	v_cmp_lt_i64_e64 s[2:3], v[18:19], v[16:17]
	v_cndmask_b32_e32 v1, v1, v3, vcc
	v_cndmask_b32_e32 v0, v0, v2, vcc
	;; [unrolled: 1-line block ×3, first 2 shown]
	v_cmp_lt_i32_e32 vcc, v14, v25
	s_or_b64 s[0:1], s[0:1], s[2:3]
	s_and_b64 vcc, vcc, s[0:1]
	s_mov_b32 s0, 0x5040100
	v_add_u32_e32 v20, v42, v26
	v_perm_b32 v7, v24, v23, s0
	v_perm_b32 v6, v22, v21, s0
	v_cndmask_b32_e32 v14, v15, v14, vcc
	; wave barrier
	ds_write_b64 v20, v[6:7]
	v_lshl_add_u32 v6, v27, 1, v40
	; wave barrier
	v_lshl_add_u32 v7, v29, 1, v40
	v_lshl_add_u32 v15, v31, 1, v40
	;; [unrolled: 1-line block ×3, first 2 shown]
	ds_read_u16 v21, v6
	ds_read_u16 v22, v7
	;; [unrolled: 1-line block ×4, first 2 shown]
	v_cndmask_b32_e32 v3, v17, v19, vcc
	v_cndmask_b32_e32 v2, v16, v18, vcc
	; wave barrier
	ds_write2_b64 v42, v[0:1], v[4:5] offset1:1
	ds_write2_b64 v42, v[8:9], v[2:3] offset0:2 offset1:3
	v_sub_u32_e64 v25, v41, 16 clamp
	v_min_i32_e32 v0, 16, v41
	v_cmp_lt_u32_e32 vcc, v25, v0
	; wave barrier
	s_and_saveexec_b64 s[0:1], vcc
	s_cbranch_execz .LBB34_36
; %bb.33:
	v_add_u32_e32 v1, 0x80, v42
	s_mov_b64 s[2:3], 0
.LBB34_34:                              ; =>This Inner Loop Header: Depth=1
	v_sub_u32_e32 v2, v0, v25
	v_lshrrev_b32_e32 v3, 31, v2
	v_add_u32_e32 v2, v2, v3
	v_ashrrev_i32_e32 v2, 1, v2
	v_add_u32_e32 v6, v2, v25
	v_not_b32_e32 v3, v6
	v_lshl_add_u32 v2, v6, 3, v40
	v_lshl_add_u32 v4, v3, 3, v1
	ds_read_b64 v[2:3], v2
	ds_read_b64 v[4:5], v4
	v_add_u32_e32 v7, 1, v6
	s_waitcnt lgkmcnt(0)
	v_cmp_lt_i64_e32 vcc, v[4:5], v[2:3]
	v_cndmask_b32_e32 v0, v0, v6, vcc
	v_cndmask_b32_e32 v25, v7, v25, vcc
	v_cmp_ge_i32_e32 vcc, v25, v0
	s_or_b64 s[2:3], vcc, s[2:3]
	s_andn2_b64 exec, exec, s[2:3]
	s_cbranch_execnz .LBB34_34
; %bb.35:
	s_or_b64 exec, exec, s[2:3]
.LBB34_36:
	s_or_b64 exec, exec, s[0:1]
	v_sub_u32_e32 v6, v41, v25
	v_lshl_add_u32 v1, v25, 3, v40
	v_lshl_add_u32 v0, v6, 3, v40
	ds_read_b64 v[2:3], v1
	ds_read_b64 v[4:5], v0 offset:128
	v_add_u32_e32 v26, 16, v6
	v_cmp_lt_i32_e64 s[0:1], 15, v25
	v_cmp_gt_i32_e32 vcc, 32, v26
                                        ; implicit-def: $vgpr6_vgpr7
	s_waitcnt lgkmcnt(0)
	v_cmp_lt_i64_e64 s[2:3], v[4:5], v[2:3]
	s_or_b64 s[0:1], s[0:1], s[2:3]
	s_and_b64 vcc, vcc, s[0:1]
	s_xor_b64 s[0:1], vcc, -1
	s_and_saveexec_b64 s[2:3], s[0:1]
	s_xor_b64 s[0:1], exec, s[2:3]
	s_cbranch_execz .LBB34_38
; %bb.37:
	ds_read_b64 v[6:7], v1 offset:8
                                        ; implicit-def: $vgpr0
.LBB34_38:
	s_or_saveexec_b64 s[0:1], s[0:1]
	v_pk_mov_b32 v[8:9], v[4:5], v[4:5] op_sel:[0,1]
	s_xor_b64 exec, exec, s[0:1]
	s_cbranch_execz .LBB34_40
; %bb.39:
	ds_read_b64 v[8:9], v0 offset:136
	s_waitcnt lgkmcnt(1)
	v_pk_mov_b32 v[6:7], v[2:3], v[2:3] op_sel:[0,1]
.LBB34_40:
	s_or_b64 exec, exec, s[0:1]
	v_add_u32_e32 v1, 1, v25
	v_add_u32_e32 v0, 1, v26
	v_cndmask_b32_e32 v28, v1, v25, vcc
	v_cndmask_b32_e32 v27, v26, v0, vcc
	v_cmp_lt_i32_e64 s[2:3], 15, v28
	s_waitcnt lgkmcnt(0)
	v_cmp_lt_i64_e64 s[4:5], v[8:9], v[6:7]
	v_cmp_gt_i32_e64 s[0:1], 32, v27
	s_or_b64 s[2:3], s[2:3], s[4:5]
	s_and_b64 s[0:1], s[0:1], s[2:3]
	s_xor_b64 s[2:3], s[0:1], -1
                                        ; implicit-def: $vgpr16_vgpr17
	s_and_saveexec_b64 s[4:5], s[2:3]
	s_xor_b64 s[2:3], exec, s[4:5]
	s_cbranch_execz .LBB34_42
; %bb.41:
	v_lshl_add_u32 v0, v28, 3, v40
	ds_read_b64 v[16:17], v0 offset:8
.LBB34_42:
	s_or_saveexec_b64 s[2:3], s[2:3]
	v_pk_mov_b32 v[14:15], v[8:9], v[8:9] op_sel:[0,1]
	s_xor_b64 exec, exec, s[2:3]
	s_cbranch_execz .LBB34_44
; %bb.43:
	v_lshl_add_u32 v0, v27, 3, v40
	ds_read_b64 v[14:15], v0 offset:8
	s_waitcnt lgkmcnt(1)
	v_pk_mov_b32 v[16:17], v[6:7], v[6:7] op_sel:[0,1]
.LBB34_44:
	s_or_b64 exec, exec, s[2:3]
	v_add_u32_e32 v1, 1, v28
	v_add_u32_e32 v0, 1, v27
	v_cndmask_b32_e64 v31, v1, v28, s[0:1]
	v_cndmask_b32_e64 v29, v27, v0, s[0:1]
	v_cmp_gt_i32_e64 s[4:5], 16, v31
	s_waitcnt lgkmcnt(0)
	v_cmp_ge_i64_e64 s[6:7], v[14:15], v[16:17]
	v_cmp_lt_i32_e64 s[2:3], 31, v29
	s_and_b64 s[4:5], s[4:5], s[6:7]
	s_or_b64 s[2:3], s[2:3], s[4:5]
                                        ; implicit-def: $vgpr18_vgpr19
                                        ; implicit-def: $vgpr30
	s_and_saveexec_b64 s[4:5], s[2:3]
	s_xor_b64 s[2:3], exec, s[4:5]
	s_cbranch_execz .LBB34_46
; %bb.45:
	v_lshl_add_u32 v0, v31, 3, v40
	ds_read_b64 v[18:19], v0 offset:8
	v_add_u32_e32 v30, 1, v31
.LBB34_46:
	s_or_saveexec_b64 s[2:3], s[2:3]
	v_pk_mov_b32 v[0:1], v[16:17], v[16:17] op_sel:[0,1]
	v_mov_b32_e32 v32, v31
	s_xor_b64 exec, exec, s[2:3]
	s_cbranch_execz .LBB34_48
; %bb.47:
	v_lshl_add_u32 v0, v29, 3, v40
	ds_read_b64 v[34:35], v0 offset:8
	s_waitcnt lgkmcnt(1)
	v_add_u32_e32 v18, 1, v29
	v_pk_mov_b32 v[0:1], v[14:15], v[14:15] op_sel:[0,1]
	v_mov_b32_e32 v32, v29
	v_mov_b32_e32 v30, v31
	;; [unrolled: 1-line block ×3, first 2 shown]
	v_pk_mov_b32 v[18:19], v[16:17], v[16:17] op_sel:[0,1]
	s_waitcnt lgkmcnt(0)
	v_pk_mov_b32 v[14:15], v[34:35], v[34:35] op_sel:[0,1]
.LBB34_48:
	s_or_b64 exec, exec, s[2:3]
	v_cmp_lt_i32_e64 s[2:3], 15, v30
	s_waitcnt lgkmcnt(0)
	v_cmp_lt_i64_e64 s[4:5], v[14:15], v[18:19]
	v_cndmask_b32_e64 v7, v7, v9, s[0:1]
	v_cndmask_b32_e64 v6, v6, v8, s[0:1]
	v_cndmask_b32_e64 v16, v28, v27, s[0:1]
	v_cmp_gt_i32_e64 s[0:1], 32, v29
	s_or_b64 s[2:3], s[2:3], s[4:5]
	s_and_b64 s[0:1], s[0:1], s[2:3]
	s_mov_b32 s2, 0x5040100
	v_cndmask_b32_e32 v5, v3, v5, vcc
	v_cndmask_b32_e32 v17, v25, v26, vcc
	v_cndmask_b32_e64 v3, v19, v15, s[0:1]
	v_cndmask_b32_e64 v15, v30, v29, s[0:1]
	v_perm_b32 v9, v24, v23, s2
	v_perm_b32 v8, v22, v21, s2
	; wave barrier
	ds_write_b64 v20, v[8:9]
	v_lshl_add_u32 v8, v17, 1, v40
	v_lshl_add_u32 v9, v16, 1, v40
	;; [unrolled: 1-line block ×4, first 2 shown]
	; wave barrier
	ds_read_u16 v8, v8
	ds_read_u16 v9, v9
	;; [unrolled: 1-line block ×4, first 2 shown]
	v_cndmask_b32_e32 v4, v2, v4, vcc
	v_cndmask_b32_e64 v2, v18, v14, s[0:1]
	global_store_dwordx4 v[10:11], v[4:7], off
	global_store_dwordx4 v[10:11], v[0:3], off offset:16
	s_waitcnt lgkmcnt(0)
	v_perm_b32 v1, v15, v16, s2
	v_perm_b32 v0, v9, v8, s2
	global_store_dwordx2 v[12:13], v[0:1], off
	s_endpgm
	.section	.rodata,"a",@progbits
	.p2align	6, 0x0
	.amdhsa_kernel _Z21sort_keys_values_fullILj256ELj8ELj4ELb1ExsN10test_utils4lessEEvPT3_PT4_T5_
		.amdhsa_group_segment_fixed_size 8448
		.amdhsa_private_segment_fixed_size 0
		.amdhsa_kernarg_size 20
		.amdhsa_user_sgpr_count 6
		.amdhsa_user_sgpr_private_segment_buffer 1
		.amdhsa_user_sgpr_dispatch_ptr 0
		.amdhsa_user_sgpr_queue_ptr 0
		.amdhsa_user_sgpr_kernarg_segment_ptr 1
		.amdhsa_user_sgpr_dispatch_id 0
		.amdhsa_user_sgpr_flat_scratch_init 0
		.amdhsa_user_sgpr_kernarg_preload_length 0
		.amdhsa_user_sgpr_kernarg_preload_offset 0
		.amdhsa_user_sgpr_private_segment_size 0
		.amdhsa_uses_dynamic_stack 0
		.amdhsa_system_sgpr_private_segment_wavefront_offset 0
		.amdhsa_system_sgpr_workgroup_id_x 1
		.amdhsa_system_sgpr_workgroup_id_y 0
		.amdhsa_system_sgpr_workgroup_id_z 0
		.amdhsa_system_sgpr_workgroup_info 0
		.amdhsa_system_vgpr_workitem_id 0
		.amdhsa_next_free_vgpr 52
		.amdhsa_next_free_sgpr 10
		.amdhsa_accum_offset 52
		.amdhsa_reserve_vcc 1
		.amdhsa_reserve_flat_scratch 0
		.amdhsa_float_round_mode_32 0
		.amdhsa_float_round_mode_16_64 0
		.amdhsa_float_denorm_mode_32 3
		.amdhsa_float_denorm_mode_16_64 3
		.amdhsa_dx10_clamp 1
		.amdhsa_ieee_mode 1
		.amdhsa_fp16_overflow 0
		.amdhsa_tg_split 0
		.amdhsa_exception_fp_ieee_invalid_op 0
		.amdhsa_exception_fp_denorm_src 0
		.amdhsa_exception_fp_ieee_div_zero 0
		.amdhsa_exception_fp_ieee_overflow 0
		.amdhsa_exception_fp_ieee_underflow 0
		.amdhsa_exception_fp_ieee_inexact 0
		.amdhsa_exception_int_div_zero 0
	.end_amdhsa_kernel
	.section	.text._Z21sort_keys_values_fullILj256ELj8ELj4ELb1ExsN10test_utils4lessEEvPT3_PT4_T5_,"axG",@progbits,_Z21sort_keys_values_fullILj256ELj8ELj4ELb1ExsN10test_utils4lessEEvPT3_PT4_T5_,comdat
.Lfunc_end34:
	.size	_Z21sort_keys_values_fullILj256ELj8ELj4ELb1ExsN10test_utils4lessEEvPT3_PT4_T5_, .Lfunc_end34-_Z21sort_keys_values_fullILj256ELj8ELj4ELb1ExsN10test_utils4lessEEvPT3_PT4_T5_
                                        ; -- End function
	.section	.AMDGPU.csdata,"",@progbits
; Kernel info:
; codeLenInByte = 3148
; NumSgprs: 14
; NumVgprs: 52
; NumAgprs: 0
; TotalNumVgprs: 52
; ScratchSize: 0
; MemoryBound: 0
; FloatMode: 240
; IeeeMode: 1
; LDSByteSize: 8448 bytes/workgroup (compile time only)
; SGPRBlocks: 1
; VGPRBlocks: 6
; NumSGPRsForWavesPerEU: 14
; NumVGPRsForWavesPerEU: 52
; AccumOffset: 52
; Occupancy: 7
; WaveLimiterHint : 0
; COMPUTE_PGM_RSRC2:SCRATCH_EN: 0
; COMPUTE_PGM_RSRC2:USER_SGPR: 6
; COMPUTE_PGM_RSRC2:TRAP_HANDLER: 0
; COMPUTE_PGM_RSRC2:TGID_X_EN: 1
; COMPUTE_PGM_RSRC2:TGID_Y_EN: 0
; COMPUTE_PGM_RSRC2:TGID_Z_EN: 0
; COMPUTE_PGM_RSRC2:TIDIG_COMP_CNT: 0
; COMPUTE_PGM_RSRC3_GFX90A:ACCUM_OFFSET: 12
; COMPUTE_PGM_RSRC3_GFX90A:TG_SPLIT: 0
	.section	.text._Z21sort_keys_values_fullILj256ELj32ELj8ELb0EN10test_utils16custom_test_typeIfEEiNS0_4lessEEvPT3_PT4_T5_,"axG",@progbits,_Z21sort_keys_values_fullILj256ELj32ELj8ELb0EN10test_utils16custom_test_typeIfEEiNS0_4lessEEvPT3_PT4_T5_,comdat
	.protected	_Z21sort_keys_values_fullILj256ELj32ELj8ELb0EN10test_utils16custom_test_typeIfEEiNS0_4lessEEvPT3_PT4_T5_ ; -- Begin function _Z21sort_keys_values_fullILj256ELj32ELj8ELb0EN10test_utils16custom_test_typeIfEEiNS0_4lessEEvPT3_PT4_T5_
	.globl	_Z21sort_keys_values_fullILj256ELj32ELj8ELb0EN10test_utils16custom_test_typeIfEEiNS0_4lessEEvPT3_PT4_T5_
	.p2align	8
	.type	_Z21sort_keys_values_fullILj256ELj32ELj8ELb0EN10test_utils16custom_test_typeIfEEiNS0_4lessEEvPT3_PT4_T5_,@function
_Z21sort_keys_values_fullILj256ELj32ELj8ELb0EN10test_utils16custom_test_typeIfEEiNS0_4lessEEvPT3_PT4_T5_: ; @_Z21sort_keys_values_fullILj256ELj32ELj8ELb0EN10test_utils16custom_test_typeIfEEiNS0_4lessEEvPT3_PT4_T5_
; %bb.0:
	s_load_dwordx4 s[0:3], s[4:5], 0x0
	s_lshl_b32 s4, s6, 11
	s_mov_b32 s5, 0
	s_lshl_b64 s[6:7], s[4:5], 3
	v_lshlrev_b32_e32 v1, 6, v0
	s_waitcnt lgkmcnt(0)
	s_add_u32 s0, s0, s6
	s_addc_u32 s1, s1, s7
	global_load_dwordx4 v[14:17], v1, s[0:1]
	global_load_dwordx4 v[18:21], v1, s[0:1] offset:16
	global_load_dwordx4 v[22:25], v1, s[0:1] offset:32
	;; [unrolled: 1-line block ×3, first 2 shown]
	s_lshl_b64 s[4:5], s[4:5], 2
	s_add_u32 s2, s2, s4
	v_mbcnt_lo_u32_b32 v2, -1, 0
	v_lshlrev_b32_e32 v8, 5, v0
	v_lshrrev_b32_e32 v12, 5, v0
	v_mov_b32_e32 v0, s1
	v_add_co_u32_e32 v10, vcc, s0, v1
	s_addc_u32 s3, s3, s5
	v_mbcnt_hi_u32_b32 v13, -1, v2
	v_addc_co_u32_e32 v11, vcc, 0, v0, vcc
	global_load_dwordx4 v[0:3], v8, s[2:3] offset:16
	global_load_dwordx4 v[4:7], v8, s[2:3]
	v_mov_b32_e32 v9, s3
	v_add_co_u32_e32 v8, vcc, s2, v8
	v_addc_co_u32_e32 v9, vcc, 0, v9, vcc
	v_lshlrev_b32_e32 v48, 3, v13
	v_and_b32_e32 v45, 0xf8, v48
	s_movk_i32 s33, 0x808
	v_lshlrev_b32_e32 v13, 3, v45
	v_mad_u32_u24 v46, v12, s33, v13
	; wave barrier
	s_waitcnt vmcnt(5)
	v_cmp_neq_f32_e64 s[0:1], v16, v14
	v_cmp_nlt_f32_e64 s[2:3], v17, v15
	s_waitcnt vmcnt(4)
	v_cmp_neq_f32_e64 s[6:7], v20, v18
	v_cmp_nlt_f32_e64 s[8:9], v21, v19
	v_cmp_nlt_f32_e32 vcc, v16, v14
	v_cmp_nlt_f32_e64 s[4:5], v20, v18
	s_waitcnt vmcnt(3)
	v_cmp_neq_f32_e64 s[12:13], v24, v22
	v_cmp_nlt_f32_e64 s[14:15], v25, v23
	s_waitcnt vmcnt(2)
	v_cmp_neq_f32_e64 s[18:19], v28, v26
	v_cmp_nlt_f32_e64 s[20:21], v29, v27
	s_or_b64 s[0:1], s[0:1], s[2:3]
	s_or_b64 s[2:3], s[6:7], s[8:9]
	v_cmp_nlt_f32_e64 s[10:11], v24, v22
	v_cmp_nlt_f32_e64 s[16:17], v28, v26
	s_or_b64 s[6:7], s[12:13], s[14:15]
	s_or_b64 s[8:9], s[18:19], s[20:21]
	s_and_b64 vcc, vcc, s[0:1]
	s_and_b64 s[0:1], s[4:5], s[2:3]
	v_cndmask_b32_e32 v30, v15, v17, vcc
	s_and_b64 s[2:3], s[10:11], s[6:7]
	s_and_b64 s[4:5], s[16:17], s[8:9]
	v_cndmask_b32_e32 v34, v14, v16, vcc
	v_cndmask_b32_e32 v15, v17, v15, vcc
	v_cndmask_b32_e32 v14, v16, v14, vcc
	v_cndmask_b32_e64 v16, v18, v20, s[0:1]
	v_cndmask_b32_e64 v17, v21, v19, s[0:1]
	;; [unrolled: 1-line block ×10, first 2 shown]
	v_cmp_neq_f32_e64 s[10:11], v18, v34
	v_cmp_nlt_f32_e64 s[12:13], v17, v30
	v_cmp_nlt_f32_e64 s[6:7], v33, v32
	;; [unrolled: 1-line block ×3, first 2 shown]
	v_cmp_neq_f32_e64 s[16:17], v21, v16
	v_cmp_nlt_f32_e64 s[18:19], v20, v31
	v_cmp_neq_f32_e64 s[22:23], v22, v19
	s_or_b64 s[10:11], s[10:11], s[12:13]
	v_cmp_nlt_f32_e64 s[14:15], v21, v16
	s_or_b64 s[12:13], s[16:17], s[18:19]
	s_or_b64 s[16:17], s[22:23], s[6:7]
	s_and_b64 s[6:7], s[8:9], s[10:11]
	v_cndmask_b32_e64 v24, v26, v28, s[4:5]
	v_cmp_nlt_f32_e64 s[20:21], v22, v19
	v_cndmask_b32_e64 v25, v30, v17, s[6:7]
	s_and_b64 s[8:9], s[14:15], s[12:13]
	v_cndmask_b32_e64 v28, v34, v18, s[6:7]
	v_cndmask_b32_e64 v17, v17, v30, s[6:7]
	v_cndmask_b32_e64 v18, v18, v34, s[6:7]
	v_cndmask_b32_e64 v23, v27, v29, s[4:5]
	v_cndmask_b32_e64 v26, v31, v20, s[8:9]
	s_and_b64 s[10:11], s[20:21], s[16:17]
	v_cndmask_b32_e64 v29, v16, v21, s[8:9]
	v_cndmask_b32_e64 v20, v20, v31, s[8:9]
	;; [unrolled: 1-line block ×3, first 2 shown]
	v_cmp_neq_f32_e64 s[14:15], v18, v14
	v_cmp_nlt_f32_e64 s[16:17], v17, v15
	v_cndmask_b32_e64 v27, v33, v32, s[10:11]
	v_cndmask_b32_e64 v21, v22, v19, s[10:11]
	v_cmp_nlt_f32_e64 s[12:13], v18, v14
	s_or_b64 s[14:15], s[14:15], s[16:17]
	v_cmp_neq_f32_e64 s[16:17], v16, v28
	v_cmp_nlt_f32_e64 s[18:19], v20, v25
	v_cndmask_b32_e64 v30, v32, v33, s[10:11]
	v_cndmask_b32_e64 v19, v19, v22, s[10:11]
	s_and_b64 s[12:13], s[12:13], s[14:15]
	v_cmp_nlt_f32_e64 s[14:15], v16, v28
	s_or_b64 s[16:17], s[16:17], s[18:19]
	v_cmp_neq_f32_e64 s[18:19], v21, v29
	v_cmp_nlt_f32_e64 s[20:21], v27, v26
	s_and_b64 s[14:15], s[14:15], s[16:17]
	v_cmp_nlt_f32_e64 s[16:17], v21, v29
	s_or_b64 s[18:19], s[18:19], s[20:21]
	v_cmp_neq_f32_e64 s[20:21], v24, v19
	v_cmp_nlt_f32_e64 s[22:23], v23, v30
	v_cndmask_b32_e64 v22, v15, v17, s[12:13]
	v_cndmask_b32_e64 v31, v14, v18, s[12:13]
	;; [unrolled: 1-line block ×8, first 2 shown]
	s_and_b64 s[16:17], s[16:17], s[18:19]
	v_cmp_nlt_f32_e64 s[18:19], v24, v19
	s_or_b64 s[20:21], s[20:21], s[22:23]
	v_cndmask_b32_e64 v25, v27, v26, s[16:17]
	v_cndmask_b32_e64 v28, v21, v29, s[16:17]
	s_and_b64 s[18:19], s[18:19], s[20:21]
	v_cmp_neq_f32_e64 s[22:23], v16, v31
	v_cmp_nlt_f32_e64 s[24:25], v20, v22
	v_cndmask_b32_e64 v26, v26, v27, s[16:17]
	v_cndmask_b32_e64 v21, v29, v21, s[16:17]
	;; [unrolled: 1-line block ×4, first 2 shown]
	v_cmp_nlt_f32_e64 s[20:21], v16, v31
	s_or_b64 s[22:23], s[22:23], s[24:25]
	v_cmp_neq_f32_e64 s[24:25], v28, v18
	v_cmp_nlt_f32_e64 s[26:27], v25, v17
	s_and_b64 s[20:21], s[20:21], s[22:23]
	v_cmp_nlt_f32_e64 s[22:23], v28, v18
	s_or_b64 s[24:25], s[24:25], s[26:27]
	v_cmp_neq_f32_e64 s[26:27], v29, v21
	v_cmp_nlt_f32_e64 s[28:29], v27, v26
	v_cndmask_b32_e64 v23, v30, v23, s[18:19]
	v_cndmask_b32_e64 v19, v19, v24, s[18:19]
	;; [unrolled: 1-line block ×6, first 2 shown]
	s_and_b64 s[22:23], s[22:23], s[24:25]
	v_cmp_nlt_f32_e64 s[24:25], v29, v21
	s_or_b64 s[26:27], s[26:27], s[28:29]
	v_cndmask_b32_e64 v22, v25, v17, s[22:23]
	v_cndmask_b32_e64 v31, v28, v18, s[22:23]
	s_and_b64 s[24:25], s[24:25], s[26:27]
	v_cmp_neq_f32_e64 s[28:29], v16, v14
	v_cmp_nlt_f32_e64 s[30:31], v20, v15
	v_cndmask_b32_e64 v17, v17, v25, s[22:23]
	v_cndmask_b32_e64 v18, v18, v28, s[22:23]
	;; [unrolled: 1-line block ×4, first 2 shown]
	v_cmp_nlt_f32_e64 s[26:27], v16, v14
	s_or_b64 s[28:29], s[28:29], s[30:31]
	v_cmp_neq_f32_e64 s[30:31], v31, v30
	v_cmp_nlt_f32_e64 s[34:35], v22, v24
	v_cndmask_b32_e64 v26, v26, v27, s[24:25]
	v_cndmask_b32_e64 v21, v21, v29, s[24:25]
	s_and_b64 s[26:27], s[26:27], s[28:29]
	v_cmp_nlt_f32_e64 s[28:29], v31, v30
	s_or_b64 s[30:31], s[30:31], s[34:35]
	v_cmp_neq_f32_e64 s[34:35], v28, v18
	v_cmp_nlt_f32_e64 s[36:37], v25, v17
	s_and_b64 s[28:29], s[28:29], s[30:31]
	v_cmp_nlt_f32_e64 s[30:31], v28, v18
	s_or_b64 s[34:35], s[34:35], s[36:37]
	v_cmp_neq_f32_e64 s[36:37], v19, v21
	v_cmp_nlt_f32_e64 s[38:39], v23, v26
	v_cndmask_b32_e64 v27, v20, v15, s[26:27]
	v_cndmask_b32_e64 v29, v16, v14, s[26:27]
	;; [unrolled: 1-line block ×6, first 2 shown]
	s_and_b64 s[30:31], s[30:31], s[34:35]
	v_cmp_nlt_f32_e64 s[34:35], v19, v21
	s_or_b64 s[36:37], s[36:37], s[38:39]
	v_cndmask_b32_e64 v22, v24, v22, s[28:29]
	v_cndmask_b32_e64 v24, v30, v31, s[28:29]
	v_cndmask_b32_e64 v30, v17, v25, s[30:31]
	v_cndmask_b32_e64 v31, v18, v28, s[30:31]
	v_cndmask_b32_e64 v17, v25, v17, s[30:31]
	v_cndmask_b32_e64 v18, v28, v18, s[30:31]
	s_and_b64 s[34:35], s[34:35], s[36:37]
	v_cmp_neq_f32_e64 s[38:39], v20, v14
	v_cmp_nlt_f32_e64 s[40:41], v16, v15
	v_cndmask_b32_e64 v25, v26, v23, s[34:35]
	v_cndmask_b32_e64 v28, v21, v19, s[34:35]
	v_cndmask_b32_e64 v23, v23, v26, s[34:35]
	v_cndmask_b32_e64 v19, v19, v21, s[34:35]
	v_cmp_nlt_f32_e64 s[36:37], v20, v14
	s_or_b64 s[38:39], s[38:39], s[40:41]
	v_cmp_neq_f32_e64 s[40:41], v18, v24
	v_cmp_nlt_f32_e64 s[42:43], v17, v22
	s_and_b64 s[36:37], s[36:37], s[38:39]
	v_cmp_nlt_f32_e64 s[38:39], v18, v24
	s_or_b64 s[40:41], s[40:41], s[42:43]
	v_cmp_neq_f32_e64 s[42:43], v19, v31
	v_cmp_nlt_f32_e64 s[44:45], v23, v30
	v_cndmask_b32_e64 v21, v16, v15, s[36:37]
	v_cndmask_b32_e64 v26, v20, v14, s[36:37]
	s_and_b64 s[38:39], s[38:39], s[40:41]
	v_cmp_nlt_f32_e64 s[40:41], v19, v31
	s_or_b64 s[42:43], s[42:43], s[44:45]
	v_cndmask_b32_e64 v16, v15, v16, s[36:37]
	v_cndmask_b32_e64 v20, v14, v20, s[36:37]
	;; [unrolled: 1-line block ×4, first 2 shown]
	s_and_b64 s[40:41], s[40:41], s[42:43]
	v_cmp_neq_f32_e64 s[44:45], v26, v29
	v_cmp_nlt_f32_e64 s[46:47], v21, v27
	v_cndmask_b32_e64 v17, v22, v17, s[38:39]
	v_cndmask_b32_e64 v18, v24, v18, s[38:39]
	;; [unrolled: 1-line block ×6, first 2 shown]
	v_cmp_nlt_f32_e64 s[42:43], v26, v29
	s_or_b64 s[44:45], s[44:45], s[46:47]
	v_cmp_neq_f32_e64 s[46:47], v33, v20
	v_cmp_nlt_f32_e64 s[48:49], v32, v16
	s_and_b64 s[42:43], s[42:43], s[44:45]
	v_cmp_nlt_f32_e64 s[44:45], v33, v20
	s_or_b64 s[46:47], s[46:47], s[48:49]
	v_cmp_neq_f32_e64 s[48:49], v19, v18
	v_cmp_nlt_f32_e64 s[50:51], v23, v17
	s_and_b64 s[44:45], s[44:45], s[46:47]
	v_cmp_nlt_f32_e64 s[46:47], v19, v18
	s_or_b64 s[48:49], s[48:49], s[50:51]
	v_cmp_neq_f32_e64 s[50:51], v28, v24
	v_cmp_nlt_f32_e64 s[52:53], v25, v22
	v_cndmask_b32_e64 v15, v21, v27, s[42:43]
	v_cndmask_b32_e64 v14, v26, v29, s[42:43]
	;; [unrolled: 1-line block ×6, first 2 shown]
	s_and_b64 s[46:47], s[46:47], s[48:49]
	v_cmp_nlt_f32_e64 s[48:49], v28, v24
	s_or_b64 s[50:51], s[50:51], s[52:53]
	v_cndmask_b32_e64 v30, v16, v32, s[44:45]
	v_cndmask_b32_e64 v31, v20, v33, s[44:45]
	;; [unrolled: 1-line block ×4, first 2 shown]
	s_and_b64 s[48:49], s[48:49], s[50:51]
	v_cmp_neq_f32_e64 s[52:53], v29, v26
	v_cmp_nlt_f32_e64 s[54:55], v27, v21
	v_cndmask_b32_e64 v34, v17, v23, s[46:47]
	v_cndmask_b32_e64 v35, v18, v19, s[46:47]
	;; [unrolled: 1-line block ×5, first 2 shown]
	v_cmp_nlt_f32_e64 s[50:51], v29, v26
	s_or_b64 s[52:53], s[52:53], s[54:55]
	v_cmp_neq_f32_e64 s[54:55], v33, v31
	v_cmp_nlt_f32_e64 s[56:57], v32, v30
	s_and_b64 s[50:51], s[50:51], s[52:53]
	v_cmp_nlt_f32_e64 s[52:53], v33, v31
	s_or_b64 s[54:55], s[54:55], s[56:57]
	v_cmp_neq_f32_e64 s[56:57], v28, v35
	v_cmp_nlt_f32_e64 s[58:59], v36, v34
	s_and_b64 s[52:53], s[52:53], s[54:55]
	v_cmp_nlt_f32_e64 s[54:55], v28, v35
	s_or_b64 s[56:57], s[56:57], s[58:59]
	v_cndmask_b32_e64 v19, v27, v21, s[50:51]
	v_cndmask_b32_e64 v18, v29, v26, s[50:51]
	;; [unrolled: 1-line block ×3, first 2 shown]
	s_and_b64 s[54:55], s[54:55], s[56:57]
	v_cndmask_b32_e64 v17, v22, v25, s[48:49]
	v_cndmask_b32_e64 v21, v21, v27, s[50:51]
	;; [unrolled: 1-line block ×10, first 2 shown]
	ds_write2_b64 v46, v[14:15], v[18:19] offset1:1
	ds_write2_b64 v46, v[20:21], v[22:23] offset0:2 offset1:3
	ds_write2_b64 v46, v[24:25], v[26:27] offset0:4 offset1:5
	;; [unrolled: 1-line block ×3, first 2 shown]
	v_and_b32_e32 v20, 0xf0, v48
	v_or_b32_e32 v47, 8, v20
	v_add_u32_e32 v49, 16, v20
	v_and_b32_e32 v16, 8, v48
	v_sub_u32_e32 v15, v49, v47
	v_sub_u32_e32 v14, v47, v20
	;; [unrolled: 1-line block ×3, first 2 shown]
	v_cmp_ge_i32_e64 s[56:57], v16, v15
	v_lshlrev_b32_e32 v13, 3, v20
	v_cndmask_b32_e64 v21, 0, v17, s[56:57]
	v_min_i32_e32 v14, v16, v14
	v_mad_u32_u24 v13, v12, s33, v13
	v_cmp_lt_i32_e64 s[56:57], v21, v14
	; wave barrier
	s_and_saveexec_b64 s[58:59], s[56:57]
	s_cbranch_execz .LBB35_8
; %bb.1:
	v_lshlrev_b32_e32 v15, 3, v16
	v_add3_u32 v15, v13, v15, 64
	s_mov_b64 s[60:61], 0
                                        ; implicit-def: $sgpr62_sgpr63
	s_branch .LBB35_4
.LBB35_2:                               ;   in Loop: Header=BB35_4 Depth=1
	s_or_b64 exec, exec, s[68:69]
	s_andn2_b64 s[56:57], s[62:63], exec
	s_and_b64 s[62:63], s[66:67], exec
	s_or_b64 s[62:63], s[56:57], s[62:63]
.LBB35_3:                               ;   in Loop: Header=BB35_4 Depth=1
	s_or_b64 exec, exec, s[64:65]
	v_add_u32_e32 v18, 1, v17
	v_cndmask_b32_e64 v14, v14, v17, s[62:63]
	v_cndmask_b32_e64 v21, v18, v21, s[62:63]
	v_cmp_ge_i32_e64 s[56:57], v21, v14
	s_or_b64 s[60:61], s[56:57], s[60:61]
	s_andn2_b64 exec, exec, s[60:61]
	s_cbranch_execz .LBB35_7
.LBB35_4:                               ; =>This Inner Loop Header: Depth=1
	v_sub_u32_e32 v17, v14, v21
	v_lshrrev_b32_e32 v18, 31, v17
	v_add_u32_e32 v17, v17, v18
	v_ashrrev_i32_e32 v17, 1, v17
	v_add_u32_e32 v17, v17, v21
	v_lshl_add_u32 v18, v17, 3, v13
	v_not_b32_e32 v19, v17
	v_lshl_add_u32 v19, v19, 3, v15
	ds_read_b32 v22, v18
	ds_read_b32 v23, v19
	s_or_b64 s[62:63], s[62:63], exec
	s_waitcnt lgkmcnt(0)
	v_cmp_nlt_f32_e64 s[56:57], v23, v22
	s_and_saveexec_b64 s[64:65], s[56:57]
	s_cbranch_execz .LBB35_3
; %bb.5:                                ;   in Loop: Header=BB35_4 Depth=1
	v_cmp_eq_f32_e64 s[56:57], v23, v22
	s_mov_b64 s[66:67], 0
	s_and_saveexec_b64 s[68:69], s[56:57]
	s_cbranch_execz .LBB35_2
; %bb.6:                                ;   in Loop: Header=BB35_4 Depth=1
	ds_read_b32 v19, v19 offset:4
	ds_read_b32 v18, v18 offset:4
	s_waitcnt lgkmcnt(0)
	v_cmp_lt_f32_e64 s[56:57], v19, v18
	s_and_b64 s[66:67], s[56:57], exec
	s_branch .LBB35_2
.LBB35_7:
	s_or_b64 exec, exec, s[60:61]
.LBB35_8:
	s_or_b64 exec, exec, s[58:59]
	v_mul_u32_u24_e32 v44, 0x808, v12
	v_add_u32_e32 v12, v20, v16
	v_lshl_add_u32 v18, v21, 3, v13
	v_sub_u32_e32 v12, v12, v21
	v_lshl_add_u32 v22, v12, 3, v44
	ds_read_b64 v[12:13], v18
	ds_read_b64 v[14:15], v22 offset:64
	v_add_u32_e32 v16, v47, v16
	v_sub_u32_e32 v50, v16, v21
	v_cmp_le_i32_e64 s[56:57], v49, v50
                                        ; implicit-def: $sgpr60_sgpr61
	s_and_saveexec_b64 s[58:59], s[56:57]
	s_xor_b64 s[56:57], exec, s[58:59]
; %bb.9:
	s_mov_b64 s[60:61], 0
; %bb.10:
	s_andn2_saveexec_b64 s[62:63], s[56:57]
	s_cbranch_execz .LBB35_16
; %bb.11:
	v_cmp_gt_i32_e64 s[56:57], 8, v21
	s_waitcnt lgkmcnt(0)
	v_cmp_nlt_f32_e64 s[58:59], v14, v12
	s_and_b64 s[64:65], s[56:57], s[58:59]
	s_mov_b64 s[56:57], -1
	s_and_saveexec_b64 s[58:59], s[64:65]
	s_cbranch_execz .LBB35_15
; %bb.12:
	v_cmp_eq_f32_e64 s[56:57], v14, v12
	s_mov_b64 s[64:65], 0
	s_and_saveexec_b64 s[66:67], s[56:57]
; %bb.13:
	v_cmp_lt_f32_e64 s[56:57], v15, v13
	s_and_b64 s[64:65], s[56:57], exec
; %bb.14:
	s_or_b64 exec, exec, s[66:67]
	s_orn2_b64 s[56:57], s[64:65], exec
.LBB35_15:
	s_or_b64 exec, exec, s[58:59]
	s_andn2_b64 s[58:59], s[60:61], exec
	s_and_b64 s[56:57], s[56:57], exec
	s_or_b64 s[60:61], s[58:59], s[56:57]
.LBB35_16:
	s_or_b64 exec, exec, s[62:63]
	s_xor_b64 s[56:57], s[60:61], -1
                                        ; implicit-def: $vgpr16_vgpr17
	s_and_saveexec_b64 s[58:59], s[56:57]
	s_xor_b64 s[56:57], exec, s[58:59]
	s_cbranch_execz .LBB35_18
; %bb.17:
	ds_read_b64 v[16:17], v18 offset:8
                                        ; implicit-def: $vgpr22
.LBB35_18:
	s_or_saveexec_b64 s[56:57], s[56:57]
	s_waitcnt lgkmcnt(0)
	v_pk_mov_b32 v[18:19], v[14:15], v[14:15] op_sel:[0,1]
	s_xor_b64 exec, exec, s[56:57]
	s_cbranch_execz .LBB35_20
; %bb.19:
	ds_read_b64 v[18:19], v22 offset:72
	v_pk_mov_b32 v[16:17], v[12:13], v[12:13] op_sel:[0,1]
.LBB35_20:
	s_or_b64 exec, exec, s[56:57]
	v_add_u32_e32 v51, v21, v20
	v_add_u32_e32 v20, 1, v50
	;; [unrolled: 1-line block ×3, first 2 shown]
	v_cndmask_b32_e64 v52, v50, v20, s[60:61]
	v_cndmask_b32_e64 v53, v21, v51, s[60:61]
	v_cmp_lt_i32_e64 s[56:57], v52, v49
	s_mov_b64 s[62:63], 0
	s_and_saveexec_b64 s[64:65], s[56:57]
	s_cbranch_execz .LBB35_26
; %bb.21:
	v_cmp_lt_i32_e64 s[56:57], v53, v47
	s_waitcnt lgkmcnt(0)
	v_cmp_nlt_f32_e64 s[58:59], v18, v16
	s_and_b64 s[62:63], s[56:57], s[58:59]
	s_mov_b64 s[56:57], -1
	s_and_saveexec_b64 s[58:59], s[62:63]
	s_cbranch_execz .LBB35_25
; %bb.22:
	v_cmp_eq_f32_e64 s[56:57], v18, v16
	s_mov_b64 s[62:63], 0
	s_and_saveexec_b64 s[66:67], s[56:57]
; %bb.23:
	v_cmp_lt_f32_e64 s[56:57], v19, v17
	s_and_b64 s[62:63], s[56:57], exec
; %bb.24:
	s_or_b64 exec, exec, s[66:67]
	s_orn2_b64 s[56:57], s[62:63], exec
.LBB35_25:
	s_or_b64 exec, exec, s[58:59]
	s_and_b64 s[62:63], s[56:57], exec
.LBB35_26:
	s_or_b64 exec, exec, s[64:65]
	s_xor_b64 s[56:57], s[62:63], -1
                                        ; implicit-def: $vgpr20_vgpr21
	s_and_saveexec_b64 s[58:59], s[56:57]
	s_xor_b64 s[56:57], exec, s[58:59]
	s_cbranch_execz .LBB35_28
; %bb.27:
	v_lshl_add_u32 v20, v53, 3, v44
	ds_read_b64 v[20:21], v20 offset:8
.LBB35_28:
	s_or_saveexec_b64 s[56:57], s[56:57]
	s_waitcnt lgkmcnt(0)
	v_pk_mov_b32 v[22:23], v[18:19], v[18:19] op_sel:[0,1]
	s_xor_b64 exec, exec, s[56:57]
	s_cbranch_execz .LBB35_30
; %bb.29:
	v_lshl_add_u32 v20, v52, 3, v44
	ds_read_b64 v[22:23], v20 offset:8
	v_pk_mov_b32 v[20:21], v[16:17], v[16:17] op_sel:[0,1]
.LBB35_30:
	s_or_b64 exec, exec, s[56:57]
	v_add_u32_e32 v25, 1, v52
	v_cndmask_b32_e64 v54, v52, v25, s[62:63]
	v_add_u32_e32 v24, 1, v53
	v_cmp_ge_i32_e64 s[56:57], v54, v49
                                        ; implicit-def: $sgpr64_sgpr65
	s_and_saveexec_b64 s[58:59], s[56:57]
	s_xor_b64 s[56:57], exec, s[58:59]
; %bb.31:
	s_mov_b64 s[64:65], 0
; %bb.32:
	s_or_saveexec_b64 s[66:67], s[56:57]
	v_cndmask_b32_e64 v55, v24, v53, s[62:63]
	s_xor_b64 exec, exec, s[66:67]
	s_cbranch_execz .LBB35_38
; %bb.33:
	v_cmp_lt_i32_e64 s[56:57], v55, v47
	s_waitcnt lgkmcnt(0)
	v_cmp_nlt_f32_e64 s[58:59], v22, v20
	s_and_b64 s[68:69], s[56:57], s[58:59]
	s_mov_b64 s[56:57], -1
	s_and_saveexec_b64 s[58:59], s[68:69]
	s_cbranch_execz .LBB35_37
; %bb.34:
	v_cmp_eq_f32_e64 s[56:57], v22, v20
	s_mov_b64 s[68:69], 0
	s_and_saveexec_b64 s[70:71], s[56:57]
; %bb.35:
	v_cmp_lt_f32_e64 s[56:57], v23, v21
	s_and_b64 s[68:69], s[56:57], exec
; %bb.36:
	s_or_b64 exec, exec, s[70:71]
	s_orn2_b64 s[56:57], s[68:69], exec
.LBB35_37:
	s_or_b64 exec, exec, s[58:59]
	s_andn2_b64 s[58:59], s[64:65], exec
	s_and_b64 s[56:57], s[56:57], exec
	s_or_b64 s[64:65], s[58:59], s[56:57]
.LBB35_38:
	s_or_b64 exec, exec, s[66:67]
	s_xor_b64 s[56:57], s[64:65], -1
                                        ; implicit-def: $vgpr24_vgpr25
	s_and_saveexec_b64 s[58:59], s[56:57]
	s_xor_b64 s[56:57], exec, s[58:59]
	s_cbranch_execz .LBB35_40
; %bb.39:
	v_lshl_add_u32 v24, v55, 3, v44
	ds_read_b64 v[24:25], v24 offset:8
.LBB35_40:
	s_or_saveexec_b64 s[56:57], s[56:57]
	s_waitcnt lgkmcnt(0)
	v_pk_mov_b32 v[26:27], v[22:23], v[22:23] op_sel:[0,1]
	s_xor_b64 exec, exec, s[56:57]
	s_cbranch_execz .LBB35_42
; %bb.41:
	v_lshl_add_u32 v24, v54, 3, v44
	ds_read_b64 v[26:27], v24 offset:8
	v_pk_mov_b32 v[24:25], v[20:21], v[20:21] op_sel:[0,1]
.LBB35_42:
	s_or_b64 exec, exec, s[56:57]
	v_add_u32_e32 v28, 1, v54
	v_add_u32_e32 v29, 1, v55
	v_cndmask_b32_e64 v56, v54, v28, s[64:65]
	v_cndmask_b32_e64 v57, v29, v55, s[64:65]
	v_cmp_lt_i32_e64 s[56:57], v56, v49
	s_mov_b64 s[66:67], 0
	s_and_saveexec_b64 s[68:69], s[56:57]
	s_cbranch_execz .LBB35_48
; %bb.43:
	v_cmp_lt_i32_e64 s[56:57], v57, v47
	s_waitcnt lgkmcnt(0)
	v_cmp_nlt_f32_e64 s[58:59], v26, v24
	s_and_b64 s[66:67], s[56:57], s[58:59]
	s_mov_b64 s[56:57], -1
	s_and_saveexec_b64 s[58:59], s[66:67]
	s_cbranch_execz .LBB35_47
; %bb.44:
	v_cmp_eq_f32_e64 s[56:57], v26, v24
	s_mov_b64 s[66:67], 0
	s_and_saveexec_b64 s[70:71], s[56:57]
; %bb.45:
	v_cmp_lt_f32_e64 s[56:57], v27, v25
	s_and_b64 s[66:67], s[56:57], exec
; %bb.46:
	s_or_b64 exec, exec, s[70:71]
	s_orn2_b64 s[56:57], s[66:67], exec
.LBB35_47:
	s_or_b64 exec, exec, s[58:59]
	s_and_b64 s[66:67], s[56:57], exec
.LBB35_48:
	s_or_b64 exec, exec, s[68:69]
	s_xor_b64 s[56:57], s[66:67], -1
                                        ; implicit-def: $vgpr28_vgpr29
	s_and_saveexec_b64 s[58:59], s[56:57]
	s_xor_b64 s[56:57], exec, s[58:59]
	s_cbranch_execz .LBB35_50
; %bb.49:
	v_lshl_add_u32 v28, v57, 3, v44
	ds_read_b64 v[28:29], v28 offset:8
.LBB35_50:
	s_or_saveexec_b64 s[56:57], s[56:57]
	s_waitcnt lgkmcnt(0)
	v_pk_mov_b32 v[30:31], v[26:27], v[26:27] op_sel:[0,1]
	s_xor_b64 exec, exec, s[56:57]
	s_cbranch_execz .LBB35_52
; %bb.51:
	v_lshl_add_u32 v28, v56, 3, v44
	ds_read_b64 v[30:31], v28 offset:8
	v_pk_mov_b32 v[28:29], v[24:25], v[24:25] op_sel:[0,1]
.LBB35_52:
	s_or_b64 exec, exec, s[56:57]
	v_add_u32_e32 v33, 1, v56
	v_cndmask_b32_e64 v58, v56, v33, s[66:67]
	v_add_u32_e32 v32, 1, v57
	v_cmp_ge_i32_e64 s[56:57], v58, v49
                                        ; implicit-def: $sgpr68_sgpr69
	s_and_saveexec_b64 s[58:59], s[56:57]
	s_xor_b64 s[56:57], exec, s[58:59]
; %bb.53:
	s_mov_b64 s[68:69], 0
; %bb.54:
	s_or_saveexec_b64 s[70:71], s[56:57]
	v_cndmask_b32_e64 v59, v32, v57, s[66:67]
	s_xor_b64 exec, exec, s[70:71]
	s_cbranch_execz .LBB35_60
; %bb.55:
	v_cmp_lt_i32_e64 s[56:57], v59, v47
	s_waitcnt lgkmcnt(0)
	v_cmp_nlt_f32_e64 s[58:59], v30, v28
	s_and_b64 s[72:73], s[56:57], s[58:59]
	s_mov_b64 s[56:57], -1
	s_and_saveexec_b64 s[58:59], s[72:73]
	s_cbranch_execz .LBB35_59
; %bb.56:
	v_cmp_eq_f32_e64 s[56:57], v30, v28
	s_mov_b64 s[72:73], 0
	s_and_saveexec_b64 s[74:75], s[56:57]
; %bb.57:
	v_cmp_lt_f32_e64 s[56:57], v31, v29
	s_and_b64 s[72:73], s[56:57], exec
; %bb.58:
	s_or_b64 exec, exec, s[74:75]
	s_orn2_b64 s[56:57], s[72:73], exec
.LBB35_59:
	s_or_b64 exec, exec, s[58:59]
	s_andn2_b64 s[58:59], s[68:69], exec
	s_and_b64 s[56:57], s[56:57], exec
	s_or_b64 s[68:69], s[58:59], s[56:57]
.LBB35_60:
	s_or_b64 exec, exec, s[70:71]
	s_xor_b64 s[56:57], s[68:69], -1
                                        ; implicit-def: $vgpr32_vgpr33
	s_and_saveexec_b64 s[58:59], s[56:57]
	s_xor_b64 s[56:57], exec, s[58:59]
	s_cbranch_execz .LBB35_62
; %bb.61:
	v_lshl_add_u32 v32, v59, 3, v44
	ds_read_b64 v[32:33], v32 offset:8
.LBB35_62:
	s_or_saveexec_b64 s[56:57], s[56:57]
	s_waitcnt lgkmcnt(0)
	v_pk_mov_b32 v[34:35], v[30:31], v[30:31] op_sel:[0,1]
	s_xor_b64 exec, exec, s[56:57]
	s_cbranch_execz .LBB35_64
; %bb.63:
	v_lshl_add_u32 v32, v58, 3, v44
	ds_read_b64 v[34:35], v32 offset:8
	v_pk_mov_b32 v[32:33], v[28:29], v[28:29] op_sel:[0,1]
.LBB35_64:
	s_or_b64 exec, exec, s[56:57]
	v_add_u32_e32 v36, 1, v58
	v_add_u32_e32 v37, 1, v59
	v_cndmask_b32_e64 v60, v58, v36, s[68:69]
	v_cndmask_b32_e64 v61, v37, v59, s[68:69]
	v_cmp_lt_i32_e64 s[56:57], v60, v49
	s_mov_b64 s[70:71], 0
	s_and_saveexec_b64 s[72:73], s[56:57]
	s_cbranch_execz .LBB35_70
; %bb.65:
	v_cmp_lt_i32_e64 s[56:57], v61, v47
	s_waitcnt lgkmcnt(0)
	v_cmp_nlt_f32_e64 s[58:59], v34, v32
	s_and_b64 s[70:71], s[56:57], s[58:59]
	s_mov_b64 s[56:57], -1
	s_and_saveexec_b64 s[58:59], s[70:71]
	s_cbranch_execz .LBB35_69
; %bb.66:
	v_cmp_eq_f32_e64 s[56:57], v34, v32
	s_mov_b64 s[70:71], 0
	s_and_saveexec_b64 s[74:75], s[56:57]
; %bb.67:
	v_cmp_lt_f32_e64 s[56:57], v35, v33
	s_and_b64 s[70:71], s[56:57], exec
; %bb.68:
	s_or_b64 exec, exec, s[74:75]
	s_orn2_b64 s[56:57], s[70:71], exec
.LBB35_69:
	s_or_b64 exec, exec, s[58:59]
	s_and_b64 s[70:71], s[56:57], exec
.LBB35_70:
	s_or_b64 exec, exec, s[72:73]
	s_xor_b64 s[56:57], s[70:71], -1
                                        ; implicit-def: $vgpr36_vgpr37
	s_and_saveexec_b64 s[58:59], s[56:57]
	s_xor_b64 s[56:57], exec, s[58:59]
	s_cbranch_execz .LBB35_72
; %bb.71:
	v_lshl_add_u32 v36, v61, 3, v44
	ds_read_b64 v[36:37], v36 offset:8
.LBB35_72:
	s_or_saveexec_b64 s[56:57], s[56:57]
	s_waitcnt lgkmcnt(0)
	v_pk_mov_b32 v[38:39], v[34:35], v[34:35] op_sel:[0,1]
	s_xor_b64 exec, exec, s[56:57]
	s_cbranch_execz .LBB35_74
; %bb.73:
	v_lshl_add_u32 v36, v60, 3, v44
	ds_read_b64 v[38:39], v36 offset:8
	v_pk_mov_b32 v[36:37], v[32:33], v[32:33] op_sel:[0,1]
.LBB35_74:
	s_or_b64 exec, exec, s[56:57]
	v_add_u32_e32 v41, 1, v60
	v_cndmask_b32_e64 v62, v60, v41, s[70:71]
	v_add_u32_e32 v40, 1, v61
	v_cmp_ge_i32_e64 s[56:57], v62, v49
                                        ; implicit-def: $sgpr72_sgpr73
	s_and_saveexec_b64 s[58:59], s[56:57]
	s_xor_b64 s[56:57], exec, s[58:59]
; %bb.75:
	s_mov_b64 s[72:73], 0
; %bb.76:
	s_or_saveexec_b64 s[74:75], s[56:57]
	v_cndmask_b32_e64 v63, v40, v61, s[70:71]
	s_xor_b64 exec, exec, s[74:75]
	s_cbranch_execz .LBB35_82
; %bb.77:
	v_cmp_lt_i32_e64 s[56:57], v63, v47
	s_waitcnt lgkmcnt(0)
	v_cmp_nlt_f32_e64 s[58:59], v38, v36
	s_and_b64 s[76:77], s[56:57], s[58:59]
	s_mov_b64 s[56:57], -1
	s_and_saveexec_b64 s[58:59], s[76:77]
	s_cbranch_execz .LBB35_81
; %bb.78:
	v_cmp_eq_f32_e64 s[56:57], v38, v36
	s_mov_b64 s[76:77], 0
	s_and_saveexec_b64 s[78:79], s[56:57]
; %bb.79:
	v_cmp_lt_f32_e64 s[56:57], v39, v37
	s_and_b64 s[76:77], s[56:57], exec
; %bb.80:
	s_or_b64 exec, exec, s[78:79]
	s_orn2_b64 s[56:57], s[76:77], exec
.LBB35_81:
	s_or_b64 exec, exec, s[58:59]
	s_andn2_b64 s[58:59], s[72:73], exec
	s_and_b64 s[56:57], s[56:57], exec
	s_or_b64 s[72:73], s[58:59], s[56:57]
.LBB35_82:
	s_or_b64 exec, exec, s[74:75]
	s_xor_b64 s[56:57], s[72:73], -1
                                        ; implicit-def: $vgpr40_vgpr41
	s_and_saveexec_b64 s[58:59], s[56:57]
	s_xor_b64 s[56:57], exec, s[58:59]
	s_cbranch_execz .LBB35_84
; %bb.83:
	v_lshl_add_u32 v40, v63, 3, v44
	ds_read_b64 v[40:41], v40 offset:8
.LBB35_84:
	s_or_saveexec_b64 s[56:57], s[56:57]
	s_waitcnt lgkmcnt(0)
	v_pk_mov_b32 v[42:43], v[38:39], v[38:39] op_sel:[0,1]
	s_xor_b64 exec, exec, s[56:57]
	s_cbranch_execz .LBB35_86
; %bb.85:
	v_lshl_add_u32 v40, v62, 3, v44
	ds_read_b64 v[42:43], v40 offset:8
	v_pk_mov_b32 v[40:41], v[36:37], v[36:37] op_sel:[0,1]
.LBB35_86:
	s_or_b64 exec, exec, s[56:57]
	v_add_u32_e32 v64, 1, v62
	v_add_u32_e32 v65, 1, v63
	v_cndmask_b32_e64 v64, v62, v64, s[72:73]
	v_cndmask_b32_e64 v65, v65, v63, s[72:73]
	v_cmp_lt_i32_e64 s[56:57], v64, v49
	s_mov_b64 s[58:59], 0
	s_and_saveexec_b64 s[74:75], s[56:57]
	s_cbranch_execz .LBB35_92
; %bb.87:
	v_cmp_lt_i32_e64 s[56:57], v65, v47
	s_waitcnt lgkmcnt(0)
	v_cmp_nlt_f32_e64 s[58:59], v42, v40
	s_and_b64 s[76:77], s[56:57], s[58:59]
	s_mov_b64 s[56:57], -1
	s_and_saveexec_b64 s[58:59], s[76:77]
	s_cbranch_execz .LBB35_91
; %bb.88:
	v_cmp_eq_f32_e64 s[56:57], v42, v40
	s_mov_b64 s[76:77], 0
	s_and_saveexec_b64 s[78:79], s[56:57]
; %bb.89:
	v_cmp_lt_f32_e64 s[56:57], v43, v41
	s_and_b64 s[76:77], s[56:57], exec
; %bb.90:
	s_or_b64 exec, exec, s[78:79]
	s_orn2_b64 s[56:57], s[76:77], exec
.LBB35_91:
	s_or_b64 exec, exec, s[58:59]
	s_and_b64 s[58:59], s[56:57], exec
.LBB35_92:
	s_or_b64 exec, exec, s[74:75]
	v_cndmask_b32_e64 v12, v12, v14, s[60:61]
	s_waitcnt vmcnt(0)
	v_cndmask_b32_e32 v14, v5, v4, vcc
	v_cndmask_b32_e32 v4, v4, v5, vcc
	v_cndmask_b32_e64 v5, v6, v7, s[0:1]
	v_cndmask_b32_e64 v6, v7, v6, s[0:1]
	v_cndmask_b32_e64 v7, v0, v1, s[2:3]
	v_cndmask_b32_e64 v0, v1, v0, s[2:3]
	v_cndmask_b32_e64 v1, v2, v3, s[4:5]
	v_cndmask_b32_e64 v2, v3, v2, s[4:5]
	v_cndmask_b32_e64 v3, v4, v6, s[6:7]
	v_cndmask_b32_e64 v4, v6, v4, s[6:7]
	v_cndmask_b32_e64 v6, v5, v0, s[8:9]
	v_cndmask_b32_e64 v0, v0, v5, s[8:9]
	v_cndmask_b32_e64 v5, v7, v2, s[10:11]
	v_cndmask_b32_e64 v2, v2, v7, s[10:11]
	v_cndmask_b32_e64 v7, v4, v14, s[12:13]
	v_cndmask_b32_e64 v4, v14, v4, s[12:13]
	v_cndmask_b32_e64 v14, v3, v0, s[14:15]
	v_cndmask_b32_e64 v0, v0, v3, s[14:15]
	v_cndmask_b32_e64 v3, v6, v2, s[16:17]
	v_cndmask_b32_e64 v2, v2, v6, s[16:17]
	v_cndmask_b32_e64 v6, v5, v1, s[18:19]
	v_cndmask_b32_e64 v1, v1, v5, s[18:19]
	v_cndmask_b32_e64 v5, v4, v0, s[20:21]
	v_cndmask_b32_e64 v0, v0, v4, s[20:21]
	v_cndmask_b32_e64 v4, v14, v2, s[22:23]
	v_cndmask_b32_e64 v2, v2, v14, s[22:23]
	v_cndmask_b32_e64 v14, v3, v1, s[24:25]
	v_cndmask_b32_e64 v1, v1, v3, s[24:25]
	v_cndmask_b32_e64 v3, v0, v7, s[26:27]
	v_cndmask_b32_e64 v0, v7, v0, s[26:27]
	v_cndmask_b32_e64 v7, v5, v2, s[28:29]
	v_cndmask_b32_e64 v2, v2, v5, s[28:29]
	v_cndmask_b32_e64 v5, v4, v1, s[30:31]
	v_cndmask_b32_e64 v1, v1, v4, s[30:31]
	v_cndmask_b32_e64 v4, v14, v6, s[34:35]
	v_cndmask_b32_e64 v6, v6, v14, s[34:35]
	v_cndmask_b32_e64 v13, v13, v15, s[60:61]
	v_cndmask_b32_e64 v14, v0, v2, s[36:37]
	v_cndmask_b32_e64 v2, v2, v0, s[36:37]
	v_cndmask_b32_e64 v15, v7, v1, s[38:39]
	v_cndmask_b32_e64 v1, v1, v7, s[38:39]
	v_cndmask_b32_e64 v7, v5, v6, s[40:41]
	v_cndmask_b32_e64 v5, v6, v5, s[40:41]
	v_cndmask_b32_e64 v21, v21, v23, s[64:65]
	v_cndmask_b32_e64 v0, v2, v3, s[42:43]
	v_cndmask_b32_e64 v2, v3, v2, s[42:43]
	v_cndmask_b32_e64 v23, v14, v1, s[44:45]
	v_cndmask_b32_e64 v1, v1, v14, s[44:45]
	v_cndmask_b32_e64 v14, v15, v5, s[46:47]
	v_cndmask_b32_e64 v5, v5, v15, s[46:47]
	v_cndmask_b32_e64 v24, v24, v26, s[66:67]
	v_cndmask_b32_e64 v26, v57, v56, s[66:67]
	v_cndmask_b32_e64 v20, v20, v22, s[64:65]
	v_cndmask_b32_e64 v22, v55, v54, s[64:65]
	v_cndmask_b32_e64 v17, v17, v19, s[62:63]
	v_cndmask_b32_e64 v16, v16, v18, s[62:63]
	v_cndmask_b32_e64 v18, v53, v52, s[62:63]
	v_cndmask_b32_e64 v19, v51, v50, s[60:61]
	v_cndmask_b32_e64 v3, v7, v4, s[48:49]
	v_cndmask_b32_e64 v7, v4, v7, s[48:49]
	v_cndmask_b32_e64 v4, v2, v1, s[50:51]
	v_cndmask_b32_e64 v1, v1, v2, s[50:51]
	v_cndmask_b32_e64 v6, v23, v5, s[52:53]
	v_cndmask_b32_e64 v5, v5, v23, s[52:53]
	v_lshl_add_u32 v47, v45, 2, v44
	v_cndmask_b32_e64 v36, v36, v38, s[72:73]
	v_cndmask_b32_e64 v38, v63, v62, s[72:73]
	;; [unrolled: 1-line block ×9, first 2 shown]
	; wave barrier
	ds_write2_b64 v47, v[0:1], v[4:5] offset1:1
	ds_write2_b64 v47, v[6:7], v[2:3] offset0:2 offset1:3
	v_lshl_add_u32 v0, v19, 2, v44
	v_lshl_add_u32 v1, v18, 2, v44
	;; [unrolled: 1-line block ×4, first 2 shown]
	; wave barrier
	v_lshl_add_u32 v18, v30, 2, v44
	v_lshl_add_u32 v19, v34, 2, v44
	;; [unrolled: 1-line block ×4, first 2 shown]
	ds_read_b32 v2, v0
	ds_read_b32 v3, v1
	;; [unrolled: 1-line block ×8, first 2 shown]
	v_cndmask_b32_e64 v37, v37, v39, s[72:73]
	v_cndmask_b32_e64 v33, v33, v35, s[70:71]
	;; [unrolled: 1-line block ×4, first 2 shown]
	s_waitcnt lgkmcnt(10)
	v_cndmask_b32_e64 v15, v41, v43, s[58:59]
	v_cndmask_b32_e64 v14, v40, v42, s[58:59]
	; wave barrier
	ds_write2_b64 v46, v[12:13], v[16:17] offset1:1
	ds_write2_b64 v46, v[20:21], v[24:25] offset0:2 offset1:3
	ds_write2_b64 v46, v[28:29], v[32:33] offset0:4 offset1:5
	;; [unrolled: 1-line block ×3, first 2 shown]
	v_and_b32_e32 v20, 0xe0, v48
	v_or_b32_e32 v49, 16, v20
	v_add_u32_e32 v50, 32, v20
	v_and_b32_e32 v16, 24, v48
	v_sub_u32_e32 v14, v50, v49
	v_sub_u32_e32 v13, v49, v20
	;; [unrolled: 1-line block ×3, first 2 shown]
	v_cmp_ge_i32_e32 vcc, v16, v14
	v_cndmask_b32_e32 v21, 0, v15, vcc
	v_min_i32_e32 v13, v16, v13
	v_lshl_add_u32 v12, v20, 3, v44
	v_cmp_lt_i32_e32 vcc, v21, v13
	; wave barrier
	s_and_saveexec_b64 s[0:1], vcc
	s_cbranch_execz .LBB35_100
; %bb.93:
	v_lshlrev_b32_e32 v14, 3, v16
	s_movk_i32 s2, 0x80
	v_add3_u32 v14, v12, v14, s2
	s_mov_b64 s[2:3], 0
                                        ; implicit-def: $sgpr4_sgpr5
	s_branch .LBB35_96
.LBB35_94:                              ;   in Loop: Header=BB35_96 Depth=1
	s_or_b64 exec, exec, s[10:11]
	s_andn2_b64 s[4:5], s[4:5], exec
	s_and_b64 s[8:9], s[8:9], exec
	s_or_b64 s[4:5], s[4:5], s[8:9]
.LBB35_95:                              ;   in Loop: Header=BB35_96 Depth=1
	s_or_b64 exec, exec, s[6:7]
	v_add_u32_e32 v17, 1, v15
	v_cndmask_b32_e64 v13, v13, v15, s[4:5]
	v_cndmask_b32_e64 v21, v17, v21, s[4:5]
	v_cmp_ge_i32_e32 vcc, v21, v13
	s_or_b64 s[2:3], vcc, s[2:3]
	s_andn2_b64 exec, exec, s[2:3]
	s_cbranch_execz .LBB35_99
.LBB35_96:                              ; =>This Inner Loop Header: Depth=1
	v_sub_u32_e32 v15, v13, v21
	v_lshrrev_b32_e32 v17, 31, v15
	v_add_u32_e32 v15, v15, v17
	v_ashrrev_i32_e32 v15, 1, v15
	v_add_u32_e32 v15, v15, v21
	v_lshl_add_u32 v17, v15, 3, v12
	v_not_b32_e32 v18, v15
	v_lshl_add_u32 v18, v18, 3, v14
	ds_read_b32 v19, v17
	ds_read_b32 v22, v18
	s_or_b64 s[4:5], s[4:5], exec
	s_waitcnt lgkmcnt(0)
	v_cmp_nlt_f32_e32 vcc, v22, v19
	s_and_saveexec_b64 s[6:7], vcc
	s_cbranch_execz .LBB35_95
; %bb.97:                               ;   in Loop: Header=BB35_96 Depth=1
	v_cmp_eq_f32_e32 vcc, v22, v19
	s_mov_b64 s[8:9], 0
	s_and_saveexec_b64 s[10:11], vcc
	s_cbranch_execz .LBB35_94
; %bb.98:                               ;   in Loop: Header=BB35_96 Depth=1
	ds_read_b32 v18, v18 offset:4
	ds_read_b32 v17, v17 offset:4
	s_waitcnt lgkmcnt(0)
	v_cmp_lt_f32_e32 vcc, v18, v17
	s_and_b64 s[8:9], vcc, exec
	s_branch .LBB35_94
.LBB35_99:
	s_or_b64 exec, exec, s[2:3]
.LBB35_100:
	s_or_b64 exec, exec, s[0:1]
	v_lshl_add_u32 v18, v21, 3, v12
	v_add_u32_e32 v12, v20, v16
	v_sub_u32_e32 v12, v12, v21
	v_lshl_add_u32 v22, v12, 3, v44
	ds_read_b64 v[12:13], v18
	ds_read_b64 v[14:15], v22 offset:128
	v_add_u32_e32 v16, v49, v16
	v_sub_u32_e32 v51, v16, v21
	v_cmp_le_i32_e32 vcc, v50, v51
                                        ; implicit-def: $sgpr2_sgpr3
	s_and_saveexec_b64 s[0:1], vcc
	s_xor_b64 s[0:1], exec, s[0:1]
; %bb.101:
	s_mov_b64 s[2:3], 0
; %bb.102:
	s_andn2_saveexec_b64 s[4:5], s[0:1]
	s_cbranch_execz .LBB35_108
; %bb.103:
	v_cmp_gt_i32_e32 vcc, 16, v21
	s_waitcnt lgkmcnt(0)
	v_cmp_nlt_f32_e64 s[0:1], v14, v12
	s_and_b64 s[8:9], vcc, s[0:1]
	s_mov_b64 s[6:7], -1
	s_and_saveexec_b64 s[0:1], s[8:9]
	s_cbranch_execz .LBB35_107
; %bb.104:
	v_cmp_eq_f32_e32 vcc, v14, v12
	s_mov_b64 s[6:7], 0
	s_and_saveexec_b64 s[8:9], vcc
; %bb.105:
	v_cmp_lt_f32_e32 vcc, v15, v13
	s_and_b64 s[6:7], vcc, exec
; %bb.106:
	s_or_b64 exec, exec, s[8:9]
	s_orn2_b64 s[6:7], s[6:7], exec
.LBB35_107:
	s_or_b64 exec, exec, s[0:1]
	s_andn2_b64 s[0:1], s[2:3], exec
	s_and_b64 s[2:3], s[6:7], exec
	s_or_b64 s[2:3], s[0:1], s[2:3]
.LBB35_108:
	s_or_b64 exec, exec, s[4:5]
	s_xor_b64 s[0:1], s[2:3], -1
                                        ; implicit-def: $vgpr16_vgpr17
	s_and_saveexec_b64 s[4:5], s[0:1]
	s_xor_b64 s[0:1], exec, s[4:5]
	s_cbranch_execz .LBB35_110
; %bb.109:
	ds_read_b64 v[16:17], v18 offset:8
                                        ; implicit-def: $vgpr22
.LBB35_110:
	s_or_saveexec_b64 s[0:1], s[0:1]
	s_waitcnt lgkmcnt(0)
	v_pk_mov_b32 v[18:19], v[14:15], v[14:15] op_sel:[0,1]
	s_xor_b64 exec, exec, s[0:1]
	s_cbranch_execz .LBB35_112
; %bb.111:
	ds_read_b64 v[18:19], v22 offset:136
	v_pk_mov_b32 v[16:17], v[12:13], v[12:13] op_sel:[0,1]
.LBB35_112:
	s_or_b64 exec, exec, s[0:1]
	v_add_u32_e32 v52, v21, v20
	v_add_u32_e32 v20, 1, v51
	;; [unrolled: 1-line block ×3, first 2 shown]
	v_cndmask_b32_e64 v53, v51, v20, s[2:3]
	v_cndmask_b32_e64 v54, v21, v52, s[2:3]
	v_cmp_lt_i32_e32 vcc, v53, v50
	s_mov_b64 s[4:5], 0
	s_and_saveexec_b64 s[6:7], vcc
	s_cbranch_execz .LBB35_118
; %bb.113:
	v_cmp_lt_i32_e32 vcc, v54, v49
	s_waitcnt lgkmcnt(0)
	v_cmp_nlt_f32_e64 s[0:1], v18, v16
	s_and_b64 s[8:9], vcc, s[0:1]
	s_mov_b64 s[4:5], -1
	s_and_saveexec_b64 s[0:1], s[8:9]
	s_cbranch_execz .LBB35_117
; %bb.114:
	v_cmp_eq_f32_e32 vcc, v18, v16
	s_mov_b64 s[4:5], 0
	s_and_saveexec_b64 s[8:9], vcc
; %bb.115:
	v_cmp_lt_f32_e32 vcc, v19, v17
	s_and_b64 s[4:5], vcc, exec
; %bb.116:
	s_or_b64 exec, exec, s[8:9]
	s_orn2_b64 s[4:5], s[4:5], exec
.LBB35_117:
	s_or_b64 exec, exec, s[0:1]
	s_and_b64 s[4:5], s[4:5], exec
.LBB35_118:
	s_or_b64 exec, exec, s[6:7]
	s_xor_b64 s[0:1], s[4:5], -1
                                        ; implicit-def: $vgpr20_vgpr21
	s_and_saveexec_b64 s[6:7], s[0:1]
	s_xor_b64 s[0:1], exec, s[6:7]
	s_cbranch_execz .LBB35_120
; %bb.119:
	v_lshl_add_u32 v20, v54, 3, v44
	ds_read_b64 v[20:21], v20 offset:8
.LBB35_120:
	s_or_saveexec_b64 s[0:1], s[0:1]
	s_waitcnt lgkmcnt(0)
	v_pk_mov_b32 v[22:23], v[18:19], v[18:19] op_sel:[0,1]
	s_xor_b64 exec, exec, s[0:1]
	s_cbranch_execz .LBB35_122
; %bb.121:
	v_lshl_add_u32 v20, v53, 3, v44
	ds_read_b64 v[22:23], v20 offset:8
	v_pk_mov_b32 v[20:21], v[16:17], v[16:17] op_sel:[0,1]
.LBB35_122:
	s_or_b64 exec, exec, s[0:1]
	v_add_u32_e32 v25, 1, v53
	v_cndmask_b32_e64 v55, v53, v25, s[4:5]
	v_add_u32_e32 v24, 1, v54
	v_cmp_ge_i32_e32 vcc, v55, v50
                                        ; implicit-def: $sgpr6_sgpr7
	s_and_saveexec_b64 s[0:1], vcc
	s_xor_b64 s[0:1], exec, s[0:1]
; %bb.123:
	s_mov_b64 s[6:7], 0
; %bb.124:
	s_or_saveexec_b64 s[8:9], s[0:1]
	v_cndmask_b32_e64 v56, v24, v54, s[4:5]
	s_xor_b64 exec, exec, s[8:9]
	s_cbranch_execz .LBB35_130
; %bb.125:
	v_cmp_lt_i32_e32 vcc, v56, v49
	s_waitcnt lgkmcnt(0)
	v_cmp_nlt_f32_e64 s[0:1], v22, v20
	s_and_b64 s[12:13], vcc, s[0:1]
	s_mov_b64 s[10:11], -1
	s_and_saveexec_b64 s[0:1], s[12:13]
	s_cbranch_execz .LBB35_129
; %bb.126:
	v_cmp_eq_f32_e32 vcc, v22, v20
	s_mov_b64 s[10:11], 0
	s_and_saveexec_b64 s[12:13], vcc
; %bb.127:
	v_cmp_lt_f32_e32 vcc, v23, v21
	s_and_b64 s[10:11], vcc, exec
; %bb.128:
	s_or_b64 exec, exec, s[12:13]
	s_orn2_b64 s[10:11], s[10:11], exec
.LBB35_129:
	s_or_b64 exec, exec, s[0:1]
	s_andn2_b64 s[0:1], s[6:7], exec
	s_and_b64 s[6:7], s[10:11], exec
	s_or_b64 s[6:7], s[0:1], s[6:7]
.LBB35_130:
	s_or_b64 exec, exec, s[8:9]
	s_xor_b64 s[0:1], s[6:7], -1
                                        ; implicit-def: $vgpr24_vgpr25
	s_and_saveexec_b64 s[8:9], s[0:1]
	s_xor_b64 s[0:1], exec, s[8:9]
	s_cbranch_execz .LBB35_132
; %bb.131:
	v_lshl_add_u32 v24, v56, 3, v44
	ds_read_b64 v[24:25], v24 offset:8
.LBB35_132:
	s_or_saveexec_b64 s[0:1], s[0:1]
	s_waitcnt lgkmcnt(0)
	v_pk_mov_b32 v[26:27], v[22:23], v[22:23] op_sel:[0,1]
	s_xor_b64 exec, exec, s[0:1]
	s_cbranch_execz .LBB35_134
; %bb.133:
	v_lshl_add_u32 v24, v55, 3, v44
	ds_read_b64 v[26:27], v24 offset:8
	v_pk_mov_b32 v[24:25], v[20:21], v[20:21] op_sel:[0,1]
.LBB35_134:
	s_or_b64 exec, exec, s[0:1]
	v_add_u32_e32 v28, 1, v55
	v_add_u32_e32 v29, 1, v56
	v_cndmask_b32_e64 v57, v55, v28, s[6:7]
	v_cndmask_b32_e64 v58, v29, v56, s[6:7]
	v_cmp_lt_i32_e32 vcc, v57, v50
	s_mov_b64 s[8:9], 0
	s_and_saveexec_b64 s[10:11], vcc
	s_cbranch_execz .LBB35_140
; %bb.135:
	v_cmp_lt_i32_e32 vcc, v58, v49
	s_waitcnt lgkmcnt(0)
	v_cmp_nlt_f32_e64 s[0:1], v26, v24
	s_and_b64 s[12:13], vcc, s[0:1]
	s_mov_b64 s[8:9], -1
	s_and_saveexec_b64 s[0:1], s[12:13]
	s_cbranch_execz .LBB35_139
; %bb.136:
	v_cmp_eq_f32_e32 vcc, v26, v24
	s_mov_b64 s[8:9], 0
	s_and_saveexec_b64 s[12:13], vcc
; %bb.137:
	v_cmp_lt_f32_e32 vcc, v27, v25
	s_and_b64 s[8:9], vcc, exec
; %bb.138:
	s_or_b64 exec, exec, s[12:13]
	s_orn2_b64 s[8:9], s[8:9], exec
.LBB35_139:
	s_or_b64 exec, exec, s[0:1]
	s_and_b64 s[8:9], s[8:9], exec
.LBB35_140:
	s_or_b64 exec, exec, s[10:11]
	s_xor_b64 s[0:1], s[8:9], -1
                                        ; implicit-def: $vgpr28_vgpr29
	s_and_saveexec_b64 s[10:11], s[0:1]
	s_xor_b64 s[0:1], exec, s[10:11]
	s_cbranch_execz .LBB35_142
; %bb.141:
	v_lshl_add_u32 v28, v58, 3, v44
	ds_read_b64 v[28:29], v28 offset:8
.LBB35_142:
	s_or_saveexec_b64 s[0:1], s[0:1]
	s_waitcnt lgkmcnt(0)
	v_pk_mov_b32 v[30:31], v[26:27], v[26:27] op_sel:[0,1]
	s_xor_b64 exec, exec, s[0:1]
	s_cbranch_execz .LBB35_144
; %bb.143:
	v_lshl_add_u32 v28, v57, 3, v44
	ds_read_b64 v[30:31], v28 offset:8
	v_pk_mov_b32 v[28:29], v[24:25], v[24:25] op_sel:[0,1]
.LBB35_144:
	s_or_b64 exec, exec, s[0:1]
	v_add_u32_e32 v33, 1, v57
	v_cndmask_b32_e64 v59, v57, v33, s[8:9]
	v_add_u32_e32 v32, 1, v58
	v_cmp_ge_i32_e32 vcc, v59, v50
                                        ; implicit-def: $sgpr10_sgpr11
	s_and_saveexec_b64 s[0:1], vcc
	s_xor_b64 s[0:1], exec, s[0:1]
; %bb.145:
	s_mov_b64 s[10:11], 0
; %bb.146:
	s_or_saveexec_b64 s[12:13], s[0:1]
	v_cndmask_b32_e64 v60, v32, v58, s[8:9]
	s_xor_b64 exec, exec, s[12:13]
	s_cbranch_execz .LBB35_152
; %bb.147:
	v_cmp_lt_i32_e32 vcc, v60, v49
	s_waitcnt lgkmcnt(0)
	v_cmp_nlt_f32_e64 s[0:1], v30, v28
	s_and_b64 s[16:17], vcc, s[0:1]
	s_mov_b64 s[14:15], -1
	s_and_saveexec_b64 s[0:1], s[16:17]
	s_cbranch_execz .LBB35_151
; %bb.148:
	v_cmp_eq_f32_e32 vcc, v30, v28
	s_mov_b64 s[14:15], 0
	s_and_saveexec_b64 s[16:17], vcc
; %bb.149:
	v_cmp_lt_f32_e32 vcc, v31, v29
	s_and_b64 s[14:15], vcc, exec
; %bb.150:
	s_or_b64 exec, exec, s[16:17]
	s_orn2_b64 s[14:15], s[14:15], exec
.LBB35_151:
	s_or_b64 exec, exec, s[0:1]
	s_andn2_b64 s[0:1], s[10:11], exec
	s_and_b64 s[10:11], s[14:15], exec
	s_or_b64 s[10:11], s[0:1], s[10:11]
.LBB35_152:
	s_or_b64 exec, exec, s[12:13]
	s_xor_b64 s[0:1], s[10:11], -1
                                        ; implicit-def: $vgpr32_vgpr33
	s_and_saveexec_b64 s[12:13], s[0:1]
	s_xor_b64 s[0:1], exec, s[12:13]
	s_cbranch_execz .LBB35_154
; %bb.153:
	v_lshl_add_u32 v32, v60, 3, v44
	ds_read_b64 v[32:33], v32 offset:8
.LBB35_154:
	s_or_saveexec_b64 s[0:1], s[0:1]
	s_waitcnt lgkmcnt(0)
	v_pk_mov_b32 v[34:35], v[30:31], v[30:31] op_sel:[0,1]
	s_xor_b64 exec, exec, s[0:1]
	s_cbranch_execz .LBB35_156
; %bb.155:
	v_lshl_add_u32 v32, v59, 3, v44
	ds_read_b64 v[34:35], v32 offset:8
	v_pk_mov_b32 v[32:33], v[28:29], v[28:29] op_sel:[0,1]
.LBB35_156:
	s_or_b64 exec, exec, s[0:1]
	v_add_u32_e32 v36, 1, v59
	v_add_u32_e32 v37, 1, v60
	v_cndmask_b32_e64 v61, v59, v36, s[10:11]
	v_cndmask_b32_e64 v62, v37, v60, s[10:11]
	v_cmp_lt_i32_e32 vcc, v61, v50
	s_mov_b64 s[12:13], 0
	s_and_saveexec_b64 s[14:15], vcc
	s_cbranch_execz .LBB35_162
; %bb.157:
	v_cmp_lt_i32_e32 vcc, v62, v49
	s_waitcnt lgkmcnt(0)
	v_cmp_nlt_f32_e64 s[0:1], v34, v32
	s_and_b64 s[16:17], vcc, s[0:1]
	s_mov_b64 s[12:13], -1
	s_and_saveexec_b64 s[0:1], s[16:17]
	s_cbranch_execz .LBB35_161
; %bb.158:
	v_cmp_eq_f32_e32 vcc, v34, v32
	s_mov_b64 s[12:13], 0
	s_and_saveexec_b64 s[16:17], vcc
; %bb.159:
	v_cmp_lt_f32_e32 vcc, v35, v33
	s_and_b64 s[12:13], vcc, exec
; %bb.160:
	s_or_b64 exec, exec, s[16:17]
	s_orn2_b64 s[12:13], s[12:13], exec
.LBB35_161:
	s_or_b64 exec, exec, s[0:1]
	s_and_b64 s[12:13], s[12:13], exec
.LBB35_162:
	s_or_b64 exec, exec, s[14:15]
	s_xor_b64 s[0:1], s[12:13], -1
                                        ; implicit-def: $vgpr36_vgpr37
	s_and_saveexec_b64 s[14:15], s[0:1]
	s_xor_b64 s[0:1], exec, s[14:15]
	s_cbranch_execz .LBB35_164
; %bb.163:
	v_lshl_add_u32 v36, v62, 3, v44
	ds_read_b64 v[36:37], v36 offset:8
.LBB35_164:
	s_or_saveexec_b64 s[0:1], s[0:1]
	s_waitcnt lgkmcnt(0)
	v_pk_mov_b32 v[38:39], v[34:35], v[34:35] op_sel:[0,1]
	s_xor_b64 exec, exec, s[0:1]
	s_cbranch_execz .LBB35_166
; %bb.165:
	v_lshl_add_u32 v36, v61, 3, v44
	ds_read_b64 v[38:39], v36 offset:8
	v_pk_mov_b32 v[36:37], v[32:33], v[32:33] op_sel:[0,1]
.LBB35_166:
	s_or_b64 exec, exec, s[0:1]
	v_add_u32_e32 v41, 1, v61
	v_cndmask_b32_e64 v63, v61, v41, s[12:13]
	v_add_u32_e32 v40, 1, v62
	v_cmp_ge_i32_e32 vcc, v63, v50
                                        ; implicit-def: $sgpr14_sgpr15
	s_and_saveexec_b64 s[0:1], vcc
	s_xor_b64 s[0:1], exec, s[0:1]
; %bb.167:
	s_mov_b64 s[14:15], 0
; %bb.168:
	s_or_saveexec_b64 s[16:17], s[0:1]
	v_cndmask_b32_e64 v64, v40, v62, s[12:13]
	s_xor_b64 exec, exec, s[16:17]
	s_cbranch_execz .LBB35_174
; %bb.169:
	v_cmp_lt_i32_e32 vcc, v64, v49
	s_waitcnt lgkmcnt(0)
	v_cmp_nlt_f32_e64 s[0:1], v38, v36
	s_and_b64 s[20:21], vcc, s[0:1]
	s_mov_b64 s[18:19], -1
	s_and_saveexec_b64 s[0:1], s[20:21]
	s_cbranch_execz .LBB35_173
; %bb.170:
	v_cmp_eq_f32_e32 vcc, v38, v36
	s_mov_b64 s[18:19], 0
	s_and_saveexec_b64 s[20:21], vcc
; %bb.171:
	v_cmp_lt_f32_e32 vcc, v39, v37
	s_and_b64 s[18:19], vcc, exec
; %bb.172:
	s_or_b64 exec, exec, s[20:21]
	s_orn2_b64 s[18:19], s[18:19], exec
.LBB35_173:
	s_or_b64 exec, exec, s[0:1]
	s_andn2_b64 s[0:1], s[14:15], exec
	s_and_b64 s[14:15], s[18:19], exec
	s_or_b64 s[14:15], s[0:1], s[14:15]
.LBB35_174:
	s_or_b64 exec, exec, s[16:17]
	s_xor_b64 s[0:1], s[14:15], -1
                                        ; implicit-def: $vgpr40_vgpr41
	s_and_saveexec_b64 s[16:17], s[0:1]
	s_xor_b64 s[0:1], exec, s[16:17]
	s_cbranch_execz .LBB35_176
; %bb.175:
	v_lshl_add_u32 v40, v64, 3, v44
	ds_read_b64 v[40:41], v40 offset:8
.LBB35_176:
	s_or_saveexec_b64 s[0:1], s[0:1]
	s_waitcnt lgkmcnt(0)
	v_pk_mov_b32 v[42:43], v[38:39], v[38:39] op_sel:[0,1]
	s_xor_b64 exec, exec, s[0:1]
	s_cbranch_execz .LBB35_178
; %bb.177:
	v_lshl_add_u32 v40, v63, 3, v44
	ds_read_b64 v[42:43], v40 offset:8
	v_pk_mov_b32 v[40:41], v[36:37], v[36:37] op_sel:[0,1]
.LBB35_178:
	s_or_b64 exec, exec, s[0:1]
	v_add_u32_e32 v65, 1, v63
	v_add_u32_e32 v66, 1, v64
	v_cndmask_b32_e64 v65, v63, v65, s[14:15]
	v_cndmask_b32_e64 v66, v66, v64, s[14:15]
	v_cmp_lt_i32_e32 vcc, v65, v50
	s_mov_b64 s[0:1], 0
	s_and_saveexec_b64 s[16:17], vcc
	s_cbranch_execz .LBB35_184
; %bb.179:
	v_cmp_lt_i32_e32 vcc, v66, v49
	s_waitcnt lgkmcnt(0)
	v_cmp_nlt_f32_e64 s[0:1], v42, v40
	s_and_b64 s[20:21], vcc, s[0:1]
	s_mov_b64 s[18:19], -1
	s_and_saveexec_b64 s[0:1], s[20:21]
	s_cbranch_execz .LBB35_183
; %bb.180:
	v_cmp_eq_f32_e32 vcc, v42, v40
	s_mov_b64 s[18:19], 0
	s_and_saveexec_b64 s[20:21], vcc
; %bb.181:
	v_cmp_lt_f32_e32 vcc, v43, v41
	s_and_b64 s[18:19], vcc, exec
; %bb.182:
	s_or_b64 exec, exec, s[20:21]
	s_orn2_b64 s[18:19], s[18:19], exec
.LBB35_183:
	s_or_b64 exec, exec, s[0:1]
	s_and_b64 s[0:1], s[18:19], exec
.LBB35_184:
	s_or_b64 exec, exec, s[16:17]
	v_cndmask_b32_e64 v24, v24, v26, s[8:9]
	v_cndmask_b32_e64 v26, v58, v57, s[8:9]
	;; [unrolled: 1-line block ×16, first 2 shown]
	; wave barrier
	ds_write2_b64 v47, v[2:3], v[6:7] offset1:1
	ds_write2_b64 v47, v[0:1], v[4:5] offset0:2 offset1:3
	v_lshl_add_u32 v0, v19, 2, v44
	v_lshl_add_u32 v1, v18, 2, v44
	;; [unrolled: 1-line block ×4, first 2 shown]
	; wave barrier
	v_lshl_add_u32 v18, v30, 2, v44
	v_lshl_add_u32 v19, v34, 2, v44
	;; [unrolled: 1-line block ×4, first 2 shown]
	ds_read_b32 v2, v0
	ds_read_b32 v3, v1
	;; [unrolled: 1-line block ×8, first 2 shown]
	v_cndmask_b32_e64 v12, v12, v14, s[2:3]
	v_cndmask_b32_e64 v13, v13, v15, s[2:3]
	;; [unrolled: 1-line block ×6, first 2 shown]
	s_waitcnt lgkmcnt(10)
	v_cndmask_b32_e64 v15, v41, v43, s[0:1]
	v_cndmask_b32_e64 v14, v40, v42, s[0:1]
	; wave barrier
	ds_write2_b64 v46, v[12:13], v[16:17] offset1:1
	ds_write2_b64 v46, v[20:21], v[24:25] offset0:2 offset1:3
	ds_write2_b64 v46, v[28:29], v[32:33] offset0:4 offset1:5
	;; [unrolled: 1-line block ×3, first 2 shown]
	v_and_b32_e32 v20, 0xc0, v48
	v_or_b32_e32 v49, 32, v20
	v_add_u32_e32 v50, 64, v20
	v_and_b32_e32 v16, 56, v48
	v_sub_u32_e32 v14, v50, v49
	v_sub_u32_e32 v13, v49, v20
	;; [unrolled: 1-line block ×3, first 2 shown]
	v_cmp_ge_i32_e32 vcc, v16, v14
	v_cndmask_b32_e32 v21, 0, v15, vcc
	v_min_i32_e32 v13, v16, v13
	v_lshl_add_u32 v12, v20, 3, v44
	v_cmp_lt_i32_e32 vcc, v21, v13
	; wave barrier
	s_and_saveexec_b64 s[0:1], vcc
	s_cbranch_execz .LBB35_192
; %bb.185:
	v_lshlrev_b32_e32 v14, 3, v16
	s_movk_i32 s2, 0x100
	v_add3_u32 v14, v12, v14, s2
	s_mov_b64 s[2:3], 0
                                        ; implicit-def: $sgpr4_sgpr5
	s_branch .LBB35_188
.LBB35_186:                             ;   in Loop: Header=BB35_188 Depth=1
	s_or_b64 exec, exec, s[10:11]
	s_andn2_b64 s[4:5], s[4:5], exec
	s_and_b64 s[8:9], s[8:9], exec
	s_or_b64 s[4:5], s[4:5], s[8:9]
.LBB35_187:                             ;   in Loop: Header=BB35_188 Depth=1
	s_or_b64 exec, exec, s[6:7]
	v_add_u32_e32 v17, 1, v15
	v_cndmask_b32_e64 v13, v13, v15, s[4:5]
	v_cndmask_b32_e64 v21, v17, v21, s[4:5]
	v_cmp_ge_i32_e32 vcc, v21, v13
	s_or_b64 s[2:3], vcc, s[2:3]
	s_andn2_b64 exec, exec, s[2:3]
	s_cbranch_execz .LBB35_191
.LBB35_188:                             ; =>This Inner Loop Header: Depth=1
	v_sub_u32_e32 v15, v13, v21
	v_lshrrev_b32_e32 v17, 31, v15
	v_add_u32_e32 v15, v15, v17
	v_ashrrev_i32_e32 v15, 1, v15
	v_add_u32_e32 v15, v15, v21
	v_lshl_add_u32 v17, v15, 3, v12
	v_not_b32_e32 v18, v15
	v_lshl_add_u32 v18, v18, 3, v14
	ds_read_b32 v19, v17
	ds_read_b32 v22, v18
	s_or_b64 s[4:5], s[4:5], exec
	s_waitcnt lgkmcnt(0)
	v_cmp_nlt_f32_e32 vcc, v22, v19
	s_and_saveexec_b64 s[6:7], vcc
	s_cbranch_execz .LBB35_187
; %bb.189:                              ;   in Loop: Header=BB35_188 Depth=1
	v_cmp_eq_f32_e32 vcc, v22, v19
	s_mov_b64 s[8:9], 0
	s_and_saveexec_b64 s[10:11], vcc
	s_cbranch_execz .LBB35_186
; %bb.190:                              ;   in Loop: Header=BB35_188 Depth=1
	ds_read_b32 v18, v18 offset:4
	ds_read_b32 v17, v17 offset:4
	s_waitcnt lgkmcnt(0)
	v_cmp_lt_f32_e32 vcc, v18, v17
	s_and_b64 s[8:9], vcc, exec
	s_branch .LBB35_186
.LBB35_191:
	s_or_b64 exec, exec, s[2:3]
.LBB35_192:
	s_or_b64 exec, exec, s[0:1]
	v_lshl_add_u32 v18, v21, 3, v12
	v_add_u32_e32 v12, v20, v16
	v_sub_u32_e32 v12, v12, v21
	v_lshl_add_u32 v22, v12, 3, v44
	ds_read_b64 v[12:13], v18
	ds_read_b64 v[14:15], v22 offset:256
	v_add_u32_e32 v16, v49, v16
	v_sub_u32_e32 v51, v16, v21
	v_cmp_le_i32_e32 vcc, v50, v51
                                        ; implicit-def: $sgpr2_sgpr3
	s_and_saveexec_b64 s[0:1], vcc
	s_xor_b64 s[0:1], exec, s[0:1]
; %bb.193:
	s_mov_b64 s[2:3], 0
; %bb.194:
	s_andn2_saveexec_b64 s[4:5], s[0:1]
	s_cbranch_execz .LBB35_200
; %bb.195:
	v_cmp_gt_i32_e32 vcc, 32, v21
	s_waitcnt lgkmcnt(0)
	v_cmp_nlt_f32_e64 s[0:1], v14, v12
	s_and_b64 s[8:9], vcc, s[0:1]
	s_mov_b64 s[6:7], -1
	s_and_saveexec_b64 s[0:1], s[8:9]
	s_cbranch_execz .LBB35_199
; %bb.196:
	v_cmp_eq_f32_e32 vcc, v14, v12
	s_mov_b64 s[6:7], 0
	s_and_saveexec_b64 s[8:9], vcc
; %bb.197:
	v_cmp_lt_f32_e32 vcc, v15, v13
	s_and_b64 s[6:7], vcc, exec
; %bb.198:
	s_or_b64 exec, exec, s[8:9]
	s_orn2_b64 s[6:7], s[6:7], exec
.LBB35_199:
	s_or_b64 exec, exec, s[0:1]
	s_andn2_b64 s[0:1], s[2:3], exec
	s_and_b64 s[2:3], s[6:7], exec
	s_or_b64 s[2:3], s[0:1], s[2:3]
.LBB35_200:
	s_or_b64 exec, exec, s[4:5]
	s_xor_b64 s[0:1], s[2:3], -1
                                        ; implicit-def: $vgpr16_vgpr17
	s_and_saveexec_b64 s[4:5], s[0:1]
	s_xor_b64 s[0:1], exec, s[4:5]
	s_cbranch_execz .LBB35_202
; %bb.201:
	ds_read_b64 v[16:17], v18 offset:8
                                        ; implicit-def: $vgpr22
.LBB35_202:
	s_or_saveexec_b64 s[0:1], s[0:1]
	s_waitcnt lgkmcnt(0)
	v_pk_mov_b32 v[18:19], v[14:15], v[14:15] op_sel:[0,1]
	s_xor_b64 exec, exec, s[0:1]
	s_cbranch_execz .LBB35_204
; %bb.203:
	ds_read_b64 v[18:19], v22 offset:264
	v_pk_mov_b32 v[16:17], v[12:13], v[12:13] op_sel:[0,1]
.LBB35_204:
	s_or_b64 exec, exec, s[0:1]
	v_add_u32_e32 v52, v21, v20
	v_add_u32_e32 v20, 1, v51
	v_add_u32_e32 v21, 1, v52
	v_cndmask_b32_e64 v53, v51, v20, s[2:3]
	v_cndmask_b32_e64 v54, v21, v52, s[2:3]
	v_cmp_lt_i32_e32 vcc, v53, v50
	s_mov_b64 s[4:5], 0
	s_and_saveexec_b64 s[6:7], vcc
	s_cbranch_execz .LBB35_210
; %bb.205:
	v_cmp_lt_i32_e32 vcc, v54, v49
	s_waitcnt lgkmcnt(0)
	v_cmp_nlt_f32_e64 s[0:1], v18, v16
	s_and_b64 s[8:9], vcc, s[0:1]
	s_mov_b64 s[4:5], -1
	s_and_saveexec_b64 s[0:1], s[8:9]
	s_cbranch_execz .LBB35_209
; %bb.206:
	v_cmp_eq_f32_e32 vcc, v18, v16
	s_mov_b64 s[4:5], 0
	s_and_saveexec_b64 s[8:9], vcc
; %bb.207:
	v_cmp_lt_f32_e32 vcc, v19, v17
	s_and_b64 s[4:5], vcc, exec
; %bb.208:
	s_or_b64 exec, exec, s[8:9]
	s_orn2_b64 s[4:5], s[4:5], exec
.LBB35_209:
	s_or_b64 exec, exec, s[0:1]
	s_and_b64 s[4:5], s[4:5], exec
.LBB35_210:
	s_or_b64 exec, exec, s[6:7]
	s_xor_b64 s[0:1], s[4:5], -1
                                        ; implicit-def: $vgpr20_vgpr21
	s_and_saveexec_b64 s[6:7], s[0:1]
	s_xor_b64 s[0:1], exec, s[6:7]
	s_cbranch_execz .LBB35_212
; %bb.211:
	v_lshl_add_u32 v20, v54, 3, v44
	ds_read_b64 v[20:21], v20 offset:8
.LBB35_212:
	s_or_saveexec_b64 s[0:1], s[0:1]
	s_waitcnt lgkmcnt(0)
	v_pk_mov_b32 v[22:23], v[18:19], v[18:19] op_sel:[0,1]
	s_xor_b64 exec, exec, s[0:1]
	s_cbranch_execz .LBB35_214
; %bb.213:
	v_lshl_add_u32 v20, v53, 3, v44
	ds_read_b64 v[22:23], v20 offset:8
	v_pk_mov_b32 v[20:21], v[16:17], v[16:17] op_sel:[0,1]
.LBB35_214:
	s_or_b64 exec, exec, s[0:1]
	v_add_u32_e32 v25, 1, v53
	v_cndmask_b32_e64 v55, v53, v25, s[4:5]
	v_add_u32_e32 v24, 1, v54
	v_cmp_ge_i32_e32 vcc, v55, v50
                                        ; implicit-def: $sgpr6_sgpr7
	s_and_saveexec_b64 s[0:1], vcc
	s_xor_b64 s[0:1], exec, s[0:1]
; %bb.215:
	s_mov_b64 s[6:7], 0
; %bb.216:
	s_or_saveexec_b64 s[8:9], s[0:1]
	v_cndmask_b32_e64 v56, v24, v54, s[4:5]
	s_xor_b64 exec, exec, s[8:9]
	s_cbranch_execz .LBB35_222
; %bb.217:
	v_cmp_lt_i32_e32 vcc, v56, v49
	s_waitcnt lgkmcnt(0)
	v_cmp_nlt_f32_e64 s[0:1], v22, v20
	s_and_b64 s[12:13], vcc, s[0:1]
	s_mov_b64 s[10:11], -1
	s_and_saveexec_b64 s[0:1], s[12:13]
	s_cbranch_execz .LBB35_221
; %bb.218:
	v_cmp_eq_f32_e32 vcc, v22, v20
	s_mov_b64 s[10:11], 0
	s_and_saveexec_b64 s[12:13], vcc
; %bb.219:
	v_cmp_lt_f32_e32 vcc, v23, v21
	s_and_b64 s[10:11], vcc, exec
; %bb.220:
	s_or_b64 exec, exec, s[12:13]
	s_orn2_b64 s[10:11], s[10:11], exec
.LBB35_221:
	s_or_b64 exec, exec, s[0:1]
	s_andn2_b64 s[0:1], s[6:7], exec
	s_and_b64 s[6:7], s[10:11], exec
	s_or_b64 s[6:7], s[0:1], s[6:7]
.LBB35_222:
	s_or_b64 exec, exec, s[8:9]
	s_xor_b64 s[0:1], s[6:7], -1
                                        ; implicit-def: $vgpr24_vgpr25
	s_and_saveexec_b64 s[8:9], s[0:1]
	s_xor_b64 s[0:1], exec, s[8:9]
	s_cbranch_execz .LBB35_224
; %bb.223:
	v_lshl_add_u32 v24, v56, 3, v44
	ds_read_b64 v[24:25], v24 offset:8
.LBB35_224:
	s_or_saveexec_b64 s[0:1], s[0:1]
	s_waitcnt lgkmcnt(0)
	v_pk_mov_b32 v[26:27], v[22:23], v[22:23] op_sel:[0,1]
	s_xor_b64 exec, exec, s[0:1]
	s_cbranch_execz .LBB35_226
; %bb.225:
	v_lshl_add_u32 v24, v55, 3, v44
	ds_read_b64 v[26:27], v24 offset:8
	v_pk_mov_b32 v[24:25], v[20:21], v[20:21] op_sel:[0,1]
.LBB35_226:
	s_or_b64 exec, exec, s[0:1]
	v_add_u32_e32 v28, 1, v55
	v_add_u32_e32 v29, 1, v56
	v_cndmask_b32_e64 v57, v55, v28, s[6:7]
	v_cndmask_b32_e64 v58, v29, v56, s[6:7]
	v_cmp_lt_i32_e32 vcc, v57, v50
	s_mov_b64 s[8:9], 0
	s_and_saveexec_b64 s[10:11], vcc
	s_cbranch_execz .LBB35_232
; %bb.227:
	v_cmp_lt_i32_e32 vcc, v58, v49
	s_waitcnt lgkmcnt(0)
	v_cmp_nlt_f32_e64 s[0:1], v26, v24
	s_and_b64 s[12:13], vcc, s[0:1]
	s_mov_b64 s[8:9], -1
	s_and_saveexec_b64 s[0:1], s[12:13]
	s_cbranch_execz .LBB35_231
; %bb.228:
	v_cmp_eq_f32_e32 vcc, v26, v24
	s_mov_b64 s[8:9], 0
	s_and_saveexec_b64 s[12:13], vcc
; %bb.229:
	v_cmp_lt_f32_e32 vcc, v27, v25
	s_and_b64 s[8:9], vcc, exec
; %bb.230:
	s_or_b64 exec, exec, s[12:13]
	s_orn2_b64 s[8:9], s[8:9], exec
.LBB35_231:
	s_or_b64 exec, exec, s[0:1]
	s_and_b64 s[8:9], s[8:9], exec
.LBB35_232:
	s_or_b64 exec, exec, s[10:11]
	s_xor_b64 s[0:1], s[8:9], -1
                                        ; implicit-def: $vgpr28_vgpr29
	s_and_saveexec_b64 s[10:11], s[0:1]
	s_xor_b64 s[0:1], exec, s[10:11]
	s_cbranch_execz .LBB35_234
; %bb.233:
	v_lshl_add_u32 v28, v58, 3, v44
	ds_read_b64 v[28:29], v28 offset:8
.LBB35_234:
	s_or_saveexec_b64 s[0:1], s[0:1]
	s_waitcnt lgkmcnt(0)
	v_pk_mov_b32 v[30:31], v[26:27], v[26:27] op_sel:[0,1]
	s_xor_b64 exec, exec, s[0:1]
	s_cbranch_execz .LBB35_236
; %bb.235:
	v_lshl_add_u32 v28, v57, 3, v44
	ds_read_b64 v[30:31], v28 offset:8
	v_pk_mov_b32 v[28:29], v[24:25], v[24:25] op_sel:[0,1]
.LBB35_236:
	s_or_b64 exec, exec, s[0:1]
	v_add_u32_e32 v33, 1, v57
	v_cndmask_b32_e64 v59, v57, v33, s[8:9]
	v_add_u32_e32 v32, 1, v58
	v_cmp_ge_i32_e32 vcc, v59, v50
                                        ; implicit-def: $sgpr10_sgpr11
	s_and_saveexec_b64 s[0:1], vcc
	s_xor_b64 s[0:1], exec, s[0:1]
; %bb.237:
	s_mov_b64 s[10:11], 0
; %bb.238:
	s_or_saveexec_b64 s[12:13], s[0:1]
	v_cndmask_b32_e64 v60, v32, v58, s[8:9]
	s_xor_b64 exec, exec, s[12:13]
	s_cbranch_execz .LBB35_244
; %bb.239:
	v_cmp_lt_i32_e32 vcc, v60, v49
	s_waitcnt lgkmcnt(0)
	v_cmp_nlt_f32_e64 s[0:1], v30, v28
	s_and_b64 s[16:17], vcc, s[0:1]
	s_mov_b64 s[14:15], -1
	s_and_saveexec_b64 s[0:1], s[16:17]
	s_cbranch_execz .LBB35_243
; %bb.240:
	v_cmp_eq_f32_e32 vcc, v30, v28
	s_mov_b64 s[14:15], 0
	s_and_saveexec_b64 s[16:17], vcc
; %bb.241:
	v_cmp_lt_f32_e32 vcc, v31, v29
	s_and_b64 s[14:15], vcc, exec
; %bb.242:
	s_or_b64 exec, exec, s[16:17]
	s_orn2_b64 s[14:15], s[14:15], exec
.LBB35_243:
	s_or_b64 exec, exec, s[0:1]
	s_andn2_b64 s[0:1], s[10:11], exec
	s_and_b64 s[10:11], s[14:15], exec
	s_or_b64 s[10:11], s[0:1], s[10:11]
.LBB35_244:
	s_or_b64 exec, exec, s[12:13]
	s_xor_b64 s[0:1], s[10:11], -1
                                        ; implicit-def: $vgpr32_vgpr33
	s_and_saveexec_b64 s[12:13], s[0:1]
	s_xor_b64 s[0:1], exec, s[12:13]
	s_cbranch_execz .LBB35_246
; %bb.245:
	v_lshl_add_u32 v32, v60, 3, v44
	ds_read_b64 v[32:33], v32 offset:8
.LBB35_246:
	s_or_saveexec_b64 s[0:1], s[0:1]
	s_waitcnt lgkmcnt(0)
	v_pk_mov_b32 v[34:35], v[30:31], v[30:31] op_sel:[0,1]
	s_xor_b64 exec, exec, s[0:1]
	s_cbranch_execz .LBB35_248
; %bb.247:
	v_lshl_add_u32 v32, v59, 3, v44
	ds_read_b64 v[34:35], v32 offset:8
	v_pk_mov_b32 v[32:33], v[28:29], v[28:29] op_sel:[0,1]
.LBB35_248:
	s_or_b64 exec, exec, s[0:1]
	v_add_u32_e32 v36, 1, v59
	v_add_u32_e32 v37, 1, v60
	v_cndmask_b32_e64 v61, v59, v36, s[10:11]
	v_cndmask_b32_e64 v62, v37, v60, s[10:11]
	v_cmp_lt_i32_e32 vcc, v61, v50
	s_mov_b64 s[12:13], 0
	s_and_saveexec_b64 s[14:15], vcc
	s_cbranch_execz .LBB35_254
; %bb.249:
	v_cmp_lt_i32_e32 vcc, v62, v49
	s_waitcnt lgkmcnt(0)
	v_cmp_nlt_f32_e64 s[0:1], v34, v32
	s_and_b64 s[16:17], vcc, s[0:1]
	s_mov_b64 s[12:13], -1
	s_and_saveexec_b64 s[0:1], s[16:17]
	s_cbranch_execz .LBB35_253
; %bb.250:
	v_cmp_eq_f32_e32 vcc, v34, v32
	s_mov_b64 s[12:13], 0
	s_and_saveexec_b64 s[16:17], vcc
; %bb.251:
	v_cmp_lt_f32_e32 vcc, v35, v33
	s_and_b64 s[12:13], vcc, exec
; %bb.252:
	s_or_b64 exec, exec, s[16:17]
	s_orn2_b64 s[12:13], s[12:13], exec
.LBB35_253:
	s_or_b64 exec, exec, s[0:1]
	s_and_b64 s[12:13], s[12:13], exec
.LBB35_254:
	s_or_b64 exec, exec, s[14:15]
	s_xor_b64 s[0:1], s[12:13], -1
                                        ; implicit-def: $vgpr36_vgpr37
	s_and_saveexec_b64 s[14:15], s[0:1]
	s_xor_b64 s[0:1], exec, s[14:15]
	s_cbranch_execz .LBB35_256
; %bb.255:
	v_lshl_add_u32 v36, v62, 3, v44
	ds_read_b64 v[36:37], v36 offset:8
.LBB35_256:
	s_or_saveexec_b64 s[0:1], s[0:1]
	s_waitcnt lgkmcnt(0)
	v_pk_mov_b32 v[38:39], v[34:35], v[34:35] op_sel:[0,1]
	s_xor_b64 exec, exec, s[0:1]
	s_cbranch_execz .LBB35_258
; %bb.257:
	v_lshl_add_u32 v36, v61, 3, v44
	ds_read_b64 v[38:39], v36 offset:8
	v_pk_mov_b32 v[36:37], v[32:33], v[32:33] op_sel:[0,1]
.LBB35_258:
	s_or_b64 exec, exec, s[0:1]
	v_add_u32_e32 v41, 1, v61
	v_cndmask_b32_e64 v63, v61, v41, s[12:13]
	v_add_u32_e32 v40, 1, v62
	v_cmp_ge_i32_e32 vcc, v63, v50
                                        ; implicit-def: $sgpr14_sgpr15
	s_and_saveexec_b64 s[0:1], vcc
	s_xor_b64 s[0:1], exec, s[0:1]
; %bb.259:
	s_mov_b64 s[14:15], 0
; %bb.260:
	s_or_saveexec_b64 s[16:17], s[0:1]
	v_cndmask_b32_e64 v64, v40, v62, s[12:13]
	s_xor_b64 exec, exec, s[16:17]
	s_cbranch_execz .LBB35_266
; %bb.261:
	v_cmp_lt_i32_e32 vcc, v64, v49
	s_waitcnt lgkmcnt(0)
	v_cmp_nlt_f32_e64 s[0:1], v38, v36
	s_and_b64 s[20:21], vcc, s[0:1]
	s_mov_b64 s[18:19], -1
	s_and_saveexec_b64 s[0:1], s[20:21]
	s_cbranch_execz .LBB35_265
; %bb.262:
	v_cmp_eq_f32_e32 vcc, v38, v36
	s_mov_b64 s[18:19], 0
	s_and_saveexec_b64 s[20:21], vcc
; %bb.263:
	v_cmp_lt_f32_e32 vcc, v39, v37
	s_and_b64 s[18:19], vcc, exec
; %bb.264:
	s_or_b64 exec, exec, s[20:21]
	s_orn2_b64 s[18:19], s[18:19], exec
.LBB35_265:
	s_or_b64 exec, exec, s[0:1]
	s_andn2_b64 s[0:1], s[14:15], exec
	s_and_b64 s[14:15], s[18:19], exec
	s_or_b64 s[14:15], s[0:1], s[14:15]
.LBB35_266:
	s_or_b64 exec, exec, s[16:17]
	s_xor_b64 s[0:1], s[14:15], -1
                                        ; implicit-def: $vgpr40_vgpr41
	s_and_saveexec_b64 s[16:17], s[0:1]
	s_xor_b64 s[0:1], exec, s[16:17]
	s_cbranch_execz .LBB35_268
; %bb.267:
	v_lshl_add_u32 v40, v64, 3, v44
	ds_read_b64 v[40:41], v40 offset:8
.LBB35_268:
	s_or_saveexec_b64 s[0:1], s[0:1]
	s_waitcnt lgkmcnt(0)
	v_pk_mov_b32 v[42:43], v[38:39], v[38:39] op_sel:[0,1]
	s_xor_b64 exec, exec, s[0:1]
	s_cbranch_execz .LBB35_270
; %bb.269:
	v_lshl_add_u32 v40, v63, 3, v44
	ds_read_b64 v[42:43], v40 offset:8
	v_pk_mov_b32 v[40:41], v[36:37], v[36:37] op_sel:[0,1]
.LBB35_270:
	s_or_b64 exec, exec, s[0:1]
	v_add_u32_e32 v65, 1, v63
	v_add_u32_e32 v66, 1, v64
	v_cndmask_b32_e64 v65, v63, v65, s[14:15]
	v_cndmask_b32_e64 v66, v66, v64, s[14:15]
	v_cmp_lt_i32_e32 vcc, v65, v50
	s_mov_b64 s[0:1], 0
	s_and_saveexec_b64 s[16:17], vcc
	s_cbranch_execz .LBB35_276
; %bb.271:
	v_cmp_lt_i32_e32 vcc, v66, v49
	s_waitcnt lgkmcnt(0)
	v_cmp_nlt_f32_e64 s[0:1], v42, v40
	s_and_b64 s[20:21], vcc, s[0:1]
	s_mov_b64 s[18:19], -1
	s_and_saveexec_b64 s[0:1], s[20:21]
	s_cbranch_execz .LBB35_275
; %bb.272:
	v_cmp_eq_f32_e32 vcc, v42, v40
	s_mov_b64 s[18:19], 0
	s_and_saveexec_b64 s[20:21], vcc
; %bb.273:
	v_cmp_lt_f32_e32 vcc, v43, v41
	s_and_b64 s[18:19], vcc, exec
; %bb.274:
	s_or_b64 exec, exec, s[20:21]
	s_orn2_b64 s[18:19], s[18:19], exec
.LBB35_275:
	s_or_b64 exec, exec, s[0:1]
	s_and_b64 s[0:1], s[18:19], exec
.LBB35_276:
	s_or_b64 exec, exec, s[16:17]
	v_cndmask_b32_e64 v24, v24, v26, s[8:9]
	v_cndmask_b32_e64 v26, v58, v57, s[8:9]
	;; [unrolled: 1-line block ×16, first 2 shown]
	; wave barrier
	ds_write2_b64 v47, v[2:3], v[6:7] offset1:1
	ds_write2_b64 v47, v[0:1], v[4:5] offset0:2 offset1:3
	v_lshl_add_u32 v0, v19, 2, v44
	v_lshl_add_u32 v1, v18, 2, v44
	;; [unrolled: 1-line block ×4, first 2 shown]
	; wave barrier
	v_lshl_add_u32 v18, v30, 2, v44
	v_lshl_add_u32 v19, v34, 2, v44
	;; [unrolled: 1-line block ×4, first 2 shown]
	ds_read_b32 v2, v0
	ds_read_b32 v3, v1
	;; [unrolled: 1-line block ×8, first 2 shown]
	v_cndmask_b32_e64 v12, v12, v14, s[2:3]
	v_cndmask_b32_e64 v13, v13, v15, s[2:3]
	;; [unrolled: 1-line block ×6, first 2 shown]
	s_waitcnt lgkmcnt(10)
	v_cndmask_b32_e64 v15, v41, v43, s[0:1]
	v_cndmask_b32_e64 v14, v40, v42, s[0:1]
	; wave barrier
	ds_write2_b64 v46, v[12:13], v[16:17] offset1:1
	ds_write2_b64 v46, v[20:21], v[24:25] offset0:2 offset1:3
	ds_write2_b64 v46, v[28:29], v[32:33] offset0:4 offset1:5
	;; [unrolled: 1-line block ×3, first 2 shown]
	v_and_b32_e32 v20, 0x80, v48
	v_and_b32_e32 v16, 0x78, v48
	v_or_b32_e32 v48, 64, v20
	v_add_u32_e32 v49, 0x80, v20
	v_sub_u32_e32 v14, v49, v48
	v_sub_u32_e32 v13, v48, v20
	;; [unrolled: 1-line block ×3, first 2 shown]
	v_cmp_ge_i32_e32 vcc, v16, v14
	v_cndmask_b32_e32 v21, 0, v15, vcc
	v_min_i32_e32 v13, v16, v13
	v_lshl_add_u32 v12, v20, 3, v44
	v_cmp_lt_i32_e32 vcc, v21, v13
	; wave barrier
	s_and_saveexec_b64 s[0:1], vcc
	s_cbranch_execz .LBB35_284
; %bb.277:
	v_lshlrev_b32_e32 v14, 3, v16
	s_movk_i32 s2, 0x200
	v_add3_u32 v14, v12, v14, s2
	s_mov_b64 s[2:3], 0
                                        ; implicit-def: $sgpr4_sgpr5
	s_branch .LBB35_280
.LBB35_278:                             ;   in Loop: Header=BB35_280 Depth=1
	s_or_b64 exec, exec, s[10:11]
	s_andn2_b64 s[4:5], s[4:5], exec
	s_and_b64 s[8:9], s[8:9], exec
	s_or_b64 s[4:5], s[4:5], s[8:9]
.LBB35_279:                             ;   in Loop: Header=BB35_280 Depth=1
	s_or_b64 exec, exec, s[6:7]
	v_add_u32_e32 v17, 1, v15
	v_cndmask_b32_e64 v13, v13, v15, s[4:5]
	v_cndmask_b32_e64 v21, v17, v21, s[4:5]
	v_cmp_ge_i32_e32 vcc, v21, v13
	s_or_b64 s[2:3], vcc, s[2:3]
	s_andn2_b64 exec, exec, s[2:3]
	s_cbranch_execz .LBB35_283
.LBB35_280:                             ; =>This Inner Loop Header: Depth=1
	v_sub_u32_e32 v15, v13, v21
	v_lshrrev_b32_e32 v17, 31, v15
	v_add_u32_e32 v15, v15, v17
	v_ashrrev_i32_e32 v15, 1, v15
	v_add_u32_e32 v15, v15, v21
	v_lshl_add_u32 v17, v15, 3, v12
	v_not_b32_e32 v18, v15
	v_lshl_add_u32 v18, v18, 3, v14
	ds_read_b32 v19, v17
	ds_read_b32 v22, v18
	s_or_b64 s[4:5], s[4:5], exec
	s_waitcnt lgkmcnt(0)
	v_cmp_nlt_f32_e32 vcc, v22, v19
	s_and_saveexec_b64 s[6:7], vcc
	s_cbranch_execz .LBB35_279
; %bb.281:                              ;   in Loop: Header=BB35_280 Depth=1
	v_cmp_eq_f32_e32 vcc, v22, v19
	s_mov_b64 s[8:9], 0
	s_and_saveexec_b64 s[10:11], vcc
	s_cbranch_execz .LBB35_278
; %bb.282:                              ;   in Loop: Header=BB35_280 Depth=1
	ds_read_b32 v18, v18 offset:4
	ds_read_b32 v17, v17 offset:4
	s_waitcnt lgkmcnt(0)
	v_cmp_lt_f32_e32 vcc, v18, v17
	s_and_b64 s[8:9], vcc, exec
	s_branch .LBB35_278
.LBB35_283:
	s_or_b64 exec, exec, s[2:3]
.LBB35_284:
	s_or_b64 exec, exec, s[0:1]
	v_lshl_add_u32 v18, v21, 3, v12
	v_add_u32_e32 v12, v20, v16
	v_sub_u32_e32 v12, v12, v21
	v_lshl_add_u32 v22, v12, 3, v44
	ds_read_b64 v[12:13], v18
	ds_read_b64 v[14:15], v22 offset:512
	v_add_u32_e32 v16, v48, v16
	v_sub_u32_e32 v50, v16, v21
	v_cmp_le_i32_e32 vcc, v49, v50
                                        ; implicit-def: $sgpr2_sgpr3
	s_and_saveexec_b64 s[0:1], vcc
	s_xor_b64 s[0:1], exec, s[0:1]
; %bb.285:
	s_mov_b64 s[2:3], 0
; %bb.286:
	s_andn2_saveexec_b64 s[4:5], s[0:1]
	s_cbranch_execz .LBB35_292
; %bb.287:
	v_cmp_gt_i32_e32 vcc, 64, v21
	s_waitcnt lgkmcnt(0)
	v_cmp_nlt_f32_e64 s[0:1], v14, v12
	s_and_b64 s[8:9], vcc, s[0:1]
	s_mov_b64 s[6:7], -1
	s_and_saveexec_b64 s[0:1], s[8:9]
	s_cbranch_execz .LBB35_291
; %bb.288:
	v_cmp_eq_f32_e32 vcc, v14, v12
	s_mov_b64 s[6:7], 0
	s_and_saveexec_b64 s[8:9], vcc
; %bb.289:
	v_cmp_lt_f32_e32 vcc, v15, v13
	s_and_b64 s[6:7], vcc, exec
; %bb.290:
	s_or_b64 exec, exec, s[8:9]
	s_orn2_b64 s[6:7], s[6:7], exec
.LBB35_291:
	s_or_b64 exec, exec, s[0:1]
	s_andn2_b64 s[0:1], s[2:3], exec
	s_and_b64 s[2:3], s[6:7], exec
	s_or_b64 s[2:3], s[0:1], s[2:3]
.LBB35_292:
	s_or_b64 exec, exec, s[4:5]
	s_xor_b64 s[0:1], s[2:3], -1
                                        ; implicit-def: $vgpr16_vgpr17
	s_and_saveexec_b64 s[4:5], s[0:1]
	s_xor_b64 s[0:1], exec, s[4:5]
	s_cbranch_execz .LBB35_294
; %bb.293:
	ds_read_b64 v[16:17], v18 offset:8
                                        ; implicit-def: $vgpr22
.LBB35_294:
	s_or_saveexec_b64 s[0:1], s[0:1]
	s_waitcnt lgkmcnt(0)
	v_pk_mov_b32 v[18:19], v[14:15], v[14:15] op_sel:[0,1]
	s_xor_b64 exec, exec, s[0:1]
	s_cbranch_execz .LBB35_296
; %bb.295:
	ds_read_b64 v[18:19], v22 offset:520
	v_pk_mov_b32 v[16:17], v[12:13], v[12:13] op_sel:[0,1]
.LBB35_296:
	s_or_b64 exec, exec, s[0:1]
	v_add_u32_e32 v51, v21, v20
	v_add_u32_e32 v20, 1, v50
	;; [unrolled: 1-line block ×3, first 2 shown]
	v_cndmask_b32_e64 v52, v50, v20, s[2:3]
	v_cndmask_b32_e64 v53, v21, v51, s[2:3]
	v_cmp_lt_i32_e32 vcc, v52, v49
	s_mov_b64 s[4:5], 0
	s_and_saveexec_b64 s[6:7], vcc
	s_cbranch_execz .LBB35_302
; %bb.297:
	v_cmp_lt_i32_e32 vcc, v53, v48
	s_waitcnt lgkmcnt(0)
	v_cmp_nlt_f32_e64 s[0:1], v18, v16
	s_and_b64 s[8:9], vcc, s[0:1]
	s_mov_b64 s[4:5], -1
	s_and_saveexec_b64 s[0:1], s[8:9]
	s_cbranch_execz .LBB35_301
; %bb.298:
	v_cmp_eq_f32_e32 vcc, v18, v16
	s_mov_b64 s[4:5], 0
	s_and_saveexec_b64 s[8:9], vcc
; %bb.299:
	v_cmp_lt_f32_e32 vcc, v19, v17
	s_and_b64 s[4:5], vcc, exec
; %bb.300:
	s_or_b64 exec, exec, s[8:9]
	s_orn2_b64 s[4:5], s[4:5], exec
.LBB35_301:
	s_or_b64 exec, exec, s[0:1]
	s_and_b64 s[4:5], s[4:5], exec
.LBB35_302:
	s_or_b64 exec, exec, s[6:7]
	s_xor_b64 s[0:1], s[4:5], -1
                                        ; implicit-def: $vgpr20_vgpr21
	s_and_saveexec_b64 s[6:7], s[0:1]
	s_xor_b64 s[0:1], exec, s[6:7]
	s_cbranch_execz .LBB35_304
; %bb.303:
	v_lshl_add_u32 v20, v53, 3, v44
	ds_read_b64 v[20:21], v20 offset:8
.LBB35_304:
	s_or_saveexec_b64 s[0:1], s[0:1]
	s_waitcnt lgkmcnt(0)
	v_pk_mov_b32 v[22:23], v[18:19], v[18:19] op_sel:[0,1]
	s_xor_b64 exec, exec, s[0:1]
	s_cbranch_execz .LBB35_306
; %bb.305:
	v_lshl_add_u32 v20, v52, 3, v44
	ds_read_b64 v[22:23], v20 offset:8
	v_pk_mov_b32 v[20:21], v[16:17], v[16:17] op_sel:[0,1]
.LBB35_306:
	s_or_b64 exec, exec, s[0:1]
	v_add_u32_e32 v25, 1, v52
	v_cndmask_b32_e64 v54, v52, v25, s[4:5]
	v_add_u32_e32 v24, 1, v53
	v_cmp_ge_i32_e32 vcc, v54, v49
                                        ; implicit-def: $sgpr6_sgpr7
	s_and_saveexec_b64 s[0:1], vcc
	s_xor_b64 s[0:1], exec, s[0:1]
; %bb.307:
	s_mov_b64 s[6:7], 0
; %bb.308:
	s_or_saveexec_b64 s[8:9], s[0:1]
	v_cndmask_b32_e64 v55, v24, v53, s[4:5]
	s_xor_b64 exec, exec, s[8:9]
	s_cbranch_execz .LBB35_314
; %bb.309:
	v_cmp_lt_i32_e32 vcc, v55, v48
	s_waitcnt lgkmcnt(0)
	v_cmp_nlt_f32_e64 s[0:1], v22, v20
	s_and_b64 s[12:13], vcc, s[0:1]
	s_mov_b64 s[10:11], -1
	s_and_saveexec_b64 s[0:1], s[12:13]
	s_cbranch_execz .LBB35_313
; %bb.310:
	v_cmp_eq_f32_e32 vcc, v22, v20
	s_mov_b64 s[10:11], 0
	s_and_saveexec_b64 s[12:13], vcc
; %bb.311:
	v_cmp_lt_f32_e32 vcc, v23, v21
	s_and_b64 s[10:11], vcc, exec
; %bb.312:
	s_or_b64 exec, exec, s[12:13]
	s_orn2_b64 s[10:11], s[10:11], exec
.LBB35_313:
	s_or_b64 exec, exec, s[0:1]
	s_andn2_b64 s[0:1], s[6:7], exec
	s_and_b64 s[6:7], s[10:11], exec
	s_or_b64 s[6:7], s[0:1], s[6:7]
.LBB35_314:
	s_or_b64 exec, exec, s[8:9]
	s_xor_b64 s[0:1], s[6:7], -1
                                        ; implicit-def: $vgpr24_vgpr25
	s_and_saveexec_b64 s[8:9], s[0:1]
	s_xor_b64 s[0:1], exec, s[8:9]
	s_cbranch_execz .LBB35_316
; %bb.315:
	v_lshl_add_u32 v24, v55, 3, v44
	ds_read_b64 v[24:25], v24 offset:8
.LBB35_316:
	s_or_saveexec_b64 s[0:1], s[0:1]
	s_waitcnt lgkmcnt(0)
	v_pk_mov_b32 v[26:27], v[22:23], v[22:23] op_sel:[0,1]
	s_xor_b64 exec, exec, s[0:1]
	s_cbranch_execz .LBB35_318
; %bb.317:
	v_lshl_add_u32 v24, v54, 3, v44
	ds_read_b64 v[26:27], v24 offset:8
	v_pk_mov_b32 v[24:25], v[20:21], v[20:21] op_sel:[0,1]
.LBB35_318:
	s_or_b64 exec, exec, s[0:1]
	v_add_u32_e32 v28, 1, v54
	v_add_u32_e32 v29, 1, v55
	v_cndmask_b32_e64 v56, v54, v28, s[6:7]
	v_cndmask_b32_e64 v57, v29, v55, s[6:7]
	v_cmp_lt_i32_e32 vcc, v56, v49
	s_mov_b64 s[8:9], 0
	s_and_saveexec_b64 s[10:11], vcc
	s_cbranch_execz .LBB35_324
; %bb.319:
	v_cmp_lt_i32_e32 vcc, v57, v48
	s_waitcnt lgkmcnt(0)
	v_cmp_nlt_f32_e64 s[0:1], v26, v24
	s_and_b64 s[12:13], vcc, s[0:1]
	s_mov_b64 s[8:9], -1
	s_and_saveexec_b64 s[0:1], s[12:13]
	s_cbranch_execz .LBB35_323
; %bb.320:
	v_cmp_eq_f32_e32 vcc, v26, v24
	s_mov_b64 s[8:9], 0
	s_and_saveexec_b64 s[12:13], vcc
; %bb.321:
	v_cmp_lt_f32_e32 vcc, v27, v25
	s_and_b64 s[8:9], vcc, exec
; %bb.322:
	s_or_b64 exec, exec, s[12:13]
	s_orn2_b64 s[8:9], s[8:9], exec
.LBB35_323:
	s_or_b64 exec, exec, s[0:1]
	s_and_b64 s[8:9], s[8:9], exec
.LBB35_324:
	s_or_b64 exec, exec, s[10:11]
	s_xor_b64 s[0:1], s[8:9], -1
                                        ; implicit-def: $vgpr28_vgpr29
	s_and_saveexec_b64 s[10:11], s[0:1]
	s_xor_b64 s[0:1], exec, s[10:11]
	s_cbranch_execz .LBB35_326
; %bb.325:
	v_lshl_add_u32 v28, v57, 3, v44
	ds_read_b64 v[28:29], v28 offset:8
.LBB35_326:
	s_or_saveexec_b64 s[0:1], s[0:1]
	s_waitcnt lgkmcnt(0)
	v_pk_mov_b32 v[30:31], v[26:27], v[26:27] op_sel:[0,1]
	s_xor_b64 exec, exec, s[0:1]
	s_cbranch_execz .LBB35_328
; %bb.327:
	v_lshl_add_u32 v28, v56, 3, v44
	ds_read_b64 v[30:31], v28 offset:8
	v_pk_mov_b32 v[28:29], v[24:25], v[24:25] op_sel:[0,1]
.LBB35_328:
	s_or_b64 exec, exec, s[0:1]
	v_add_u32_e32 v33, 1, v56
	v_cndmask_b32_e64 v58, v56, v33, s[8:9]
	v_add_u32_e32 v32, 1, v57
	v_cmp_ge_i32_e32 vcc, v58, v49
                                        ; implicit-def: $sgpr10_sgpr11
	s_and_saveexec_b64 s[0:1], vcc
	s_xor_b64 s[0:1], exec, s[0:1]
; %bb.329:
	s_mov_b64 s[10:11], 0
; %bb.330:
	s_or_saveexec_b64 s[12:13], s[0:1]
	v_cndmask_b32_e64 v59, v32, v57, s[8:9]
	s_xor_b64 exec, exec, s[12:13]
	s_cbranch_execz .LBB35_336
; %bb.331:
	v_cmp_lt_i32_e32 vcc, v59, v48
	s_waitcnt lgkmcnt(0)
	v_cmp_nlt_f32_e64 s[0:1], v30, v28
	s_and_b64 s[16:17], vcc, s[0:1]
	s_mov_b64 s[14:15], -1
	s_and_saveexec_b64 s[0:1], s[16:17]
	s_cbranch_execz .LBB35_335
; %bb.332:
	v_cmp_eq_f32_e32 vcc, v30, v28
	s_mov_b64 s[14:15], 0
	s_and_saveexec_b64 s[16:17], vcc
; %bb.333:
	v_cmp_lt_f32_e32 vcc, v31, v29
	s_and_b64 s[14:15], vcc, exec
; %bb.334:
	s_or_b64 exec, exec, s[16:17]
	s_orn2_b64 s[14:15], s[14:15], exec
.LBB35_335:
	s_or_b64 exec, exec, s[0:1]
	s_andn2_b64 s[0:1], s[10:11], exec
	s_and_b64 s[10:11], s[14:15], exec
	s_or_b64 s[10:11], s[0:1], s[10:11]
.LBB35_336:
	s_or_b64 exec, exec, s[12:13]
	s_xor_b64 s[0:1], s[10:11], -1
                                        ; implicit-def: $vgpr32_vgpr33
	s_and_saveexec_b64 s[12:13], s[0:1]
	s_xor_b64 s[0:1], exec, s[12:13]
	s_cbranch_execz .LBB35_338
; %bb.337:
	v_lshl_add_u32 v32, v59, 3, v44
	ds_read_b64 v[32:33], v32 offset:8
.LBB35_338:
	s_or_saveexec_b64 s[0:1], s[0:1]
	s_waitcnt lgkmcnt(0)
	v_pk_mov_b32 v[34:35], v[30:31], v[30:31] op_sel:[0,1]
	s_xor_b64 exec, exec, s[0:1]
	s_cbranch_execz .LBB35_340
; %bb.339:
	v_lshl_add_u32 v32, v58, 3, v44
	ds_read_b64 v[34:35], v32 offset:8
	v_pk_mov_b32 v[32:33], v[28:29], v[28:29] op_sel:[0,1]
.LBB35_340:
	s_or_b64 exec, exec, s[0:1]
	v_add_u32_e32 v36, 1, v58
	v_add_u32_e32 v37, 1, v59
	v_cndmask_b32_e64 v60, v58, v36, s[10:11]
	v_cndmask_b32_e64 v61, v37, v59, s[10:11]
	v_cmp_lt_i32_e32 vcc, v60, v49
	s_mov_b64 s[12:13], 0
	s_and_saveexec_b64 s[14:15], vcc
	s_cbranch_execz .LBB35_346
; %bb.341:
	v_cmp_lt_i32_e32 vcc, v61, v48
	s_waitcnt lgkmcnt(0)
	v_cmp_nlt_f32_e64 s[0:1], v34, v32
	s_and_b64 s[16:17], vcc, s[0:1]
	s_mov_b64 s[12:13], -1
	s_and_saveexec_b64 s[0:1], s[16:17]
	s_cbranch_execz .LBB35_345
; %bb.342:
	v_cmp_eq_f32_e32 vcc, v34, v32
	s_mov_b64 s[12:13], 0
	s_and_saveexec_b64 s[16:17], vcc
; %bb.343:
	v_cmp_lt_f32_e32 vcc, v35, v33
	s_and_b64 s[12:13], vcc, exec
; %bb.344:
	s_or_b64 exec, exec, s[16:17]
	s_orn2_b64 s[12:13], s[12:13], exec
.LBB35_345:
	s_or_b64 exec, exec, s[0:1]
	s_and_b64 s[12:13], s[12:13], exec
.LBB35_346:
	s_or_b64 exec, exec, s[14:15]
	s_xor_b64 s[0:1], s[12:13], -1
                                        ; implicit-def: $vgpr36_vgpr37
	s_and_saveexec_b64 s[14:15], s[0:1]
	s_xor_b64 s[0:1], exec, s[14:15]
	s_cbranch_execz .LBB35_348
; %bb.347:
	v_lshl_add_u32 v36, v61, 3, v44
	ds_read_b64 v[36:37], v36 offset:8
.LBB35_348:
	s_or_saveexec_b64 s[0:1], s[0:1]
	s_waitcnt lgkmcnt(0)
	v_pk_mov_b32 v[38:39], v[34:35], v[34:35] op_sel:[0,1]
	s_xor_b64 exec, exec, s[0:1]
	s_cbranch_execz .LBB35_350
; %bb.349:
	v_lshl_add_u32 v36, v60, 3, v44
	ds_read_b64 v[38:39], v36 offset:8
	v_pk_mov_b32 v[36:37], v[32:33], v[32:33] op_sel:[0,1]
.LBB35_350:
	s_or_b64 exec, exec, s[0:1]
	v_add_u32_e32 v41, 1, v60
	v_cndmask_b32_e64 v62, v60, v41, s[12:13]
	v_add_u32_e32 v40, 1, v61
	v_cmp_ge_i32_e32 vcc, v62, v49
                                        ; implicit-def: $sgpr14_sgpr15
	s_and_saveexec_b64 s[0:1], vcc
	s_xor_b64 s[0:1], exec, s[0:1]
; %bb.351:
	s_mov_b64 s[14:15], 0
; %bb.352:
	s_or_saveexec_b64 s[16:17], s[0:1]
	v_cndmask_b32_e64 v63, v40, v61, s[12:13]
	s_xor_b64 exec, exec, s[16:17]
	s_cbranch_execz .LBB35_358
; %bb.353:
	v_cmp_lt_i32_e32 vcc, v63, v48
	s_waitcnt lgkmcnt(0)
	v_cmp_nlt_f32_e64 s[0:1], v38, v36
	s_and_b64 s[20:21], vcc, s[0:1]
	s_mov_b64 s[18:19], -1
	s_and_saveexec_b64 s[0:1], s[20:21]
	s_cbranch_execz .LBB35_357
; %bb.354:
	v_cmp_eq_f32_e32 vcc, v38, v36
	s_mov_b64 s[18:19], 0
	s_and_saveexec_b64 s[20:21], vcc
; %bb.355:
	v_cmp_lt_f32_e32 vcc, v39, v37
	s_and_b64 s[18:19], vcc, exec
; %bb.356:
	s_or_b64 exec, exec, s[20:21]
	s_orn2_b64 s[18:19], s[18:19], exec
.LBB35_357:
	s_or_b64 exec, exec, s[0:1]
	s_andn2_b64 s[0:1], s[14:15], exec
	s_and_b64 s[14:15], s[18:19], exec
	s_or_b64 s[14:15], s[0:1], s[14:15]
.LBB35_358:
	s_or_b64 exec, exec, s[16:17]
	s_xor_b64 s[0:1], s[14:15], -1
                                        ; implicit-def: $vgpr40_vgpr41
	s_and_saveexec_b64 s[16:17], s[0:1]
	s_xor_b64 s[0:1], exec, s[16:17]
	s_cbranch_execz .LBB35_360
; %bb.359:
	v_lshl_add_u32 v40, v63, 3, v44
	ds_read_b64 v[40:41], v40 offset:8
.LBB35_360:
	s_or_saveexec_b64 s[0:1], s[0:1]
	s_waitcnt lgkmcnt(0)
	v_pk_mov_b32 v[42:43], v[38:39], v[38:39] op_sel:[0,1]
	s_xor_b64 exec, exec, s[0:1]
	s_cbranch_execz .LBB35_362
; %bb.361:
	v_lshl_add_u32 v40, v62, 3, v44
	ds_read_b64 v[42:43], v40 offset:8
	v_pk_mov_b32 v[40:41], v[36:37], v[36:37] op_sel:[0,1]
.LBB35_362:
	s_or_b64 exec, exec, s[0:1]
	v_add_u32_e32 v64, 1, v62
	v_add_u32_e32 v65, 1, v63
	v_cndmask_b32_e64 v64, v62, v64, s[14:15]
	v_cndmask_b32_e64 v65, v65, v63, s[14:15]
	v_cmp_lt_i32_e32 vcc, v64, v49
	s_mov_b64 s[0:1], 0
	s_and_saveexec_b64 s[16:17], vcc
	s_cbranch_execz .LBB35_368
; %bb.363:
	v_cmp_lt_i32_e32 vcc, v65, v48
	s_waitcnt lgkmcnt(0)
	v_cmp_nlt_f32_e64 s[0:1], v42, v40
	s_and_b64 s[20:21], vcc, s[0:1]
	s_mov_b64 s[18:19], -1
	s_and_saveexec_b64 s[0:1], s[20:21]
	s_cbranch_execz .LBB35_367
; %bb.364:
	v_cmp_eq_f32_e32 vcc, v42, v40
	s_mov_b64 s[18:19], 0
	s_and_saveexec_b64 s[20:21], vcc
; %bb.365:
	v_cmp_lt_f32_e32 vcc, v43, v41
	s_and_b64 s[18:19], vcc, exec
; %bb.366:
	s_or_b64 exec, exec, s[20:21]
	s_orn2_b64 s[18:19], s[18:19], exec
.LBB35_367:
	s_or_b64 exec, exec, s[0:1]
	s_and_b64 s[0:1], s[18:19], exec
.LBB35_368:
	s_or_b64 exec, exec, s[16:17]
	v_cndmask_b32_e64 v24, v24, v26, s[8:9]
	v_cndmask_b32_e64 v26, v57, v56, s[8:9]
	;; [unrolled: 1-line block ×16, first 2 shown]
	; wave barrier
	ds_write2_b64 v47, v[2:3], v[6:7] offset1:1
	ds_write2_b64 v47, v[0:1], v[4:5] offset0:2 offset1:3
	v_lshl_add_u32 v0, v19, 2, v44
	v_lshl_add_u32 v1, v18, 2, v44
	;; [unrolled: 1-line block ×4, first 2 shown]
	; wave barrier
	v_lshl_add_u32 v18, v30, 2, v44
	v_lshl_add_u32 v19, v34, 2, v44
	;; [unrolled: 1-line block ×4, first 2 shown]
	ds_read_b32 v2, v0
	ds_read_b32 v3, v1
	;; [unrolled: 1-line block ×8, first 2 shown]
	v_cndmask_b32_e64 v12, v12, v14, s[2:3]
	v_cndmask_b32_e64 v13, v13, v15, s[2:3]
	s_waitcnt lgkmcnt(10)
	v_cndmask_b32_e64 v15, v41, v43, s[0:1]
	v_cndmask_b32_e64 v14, v40, v42, s[0:1]
	s_movk_i32 s0, 0x80
	v_cndmask_b32_e64 v37, v37, v39, s[14:15]
	v_cndmask_b32_e64 v33, v33, v35, s[12:13]
	;; [unrolled: 1-line block ×4, first 2 shown]
	; wave barrier
	ds_write2_b64 v46, v[12:13], v[16:17] offset1:1
	ds_write2_b64 v46, v[20:21], v[24:25] offset0:2 offset1:3
	ds_write2_b64 v46, v[28:29], v[32:33] offset0:4 offset1:5
	;; [unrolled: 1-line block ×3, first 2 shown]
	v_sub_u32_e64 v48, v45, s0 clamp
	v_min_i32_e32 v12, 0x80, v45
	v_cmp_lt_u32_e32 vcc, v48, v12
	; wave barrier
	s_and_saveexec_b64 s[0:1], vcc
	s_cbranch_execz .LBB35_376
; %bb.369:
	v_add_u32_e32 v13, 0x400, v46
	s_mov_b64 s[2:3], 0
                                        ; implicit-def: $sgpr4_sgpr5
	s_branch .LBB35_372
.LBB35_370:                             ;   in Loop: Header=BB35_372 Depth=1
	s_or_b64 exec, exec, s[10:11]
	s_andn2_b64 s[4:5], s[4:5], exec
	s_and_b64 s[8:9], s[8:9], exec
	s_or_b64 s[4:5], s[4:5], s[8:9]
.LBB35_371:                             ;   in Loop: Header=BB35_372 Depth=1
	s_or_b64 exec, exec, s[6:7]
	v_add_u32_e32 v15, 1, v14
	v_cndmask_b32_e64 v12, v12, v14, s[4:5]
	v_cndmask_b32_e64 v48, v15, v48, s[4:5]
	v_cmp_ge_i32_e32 vcc, v48, v12
	s_or_b64 s[2:3], vcc, s[2:3]
	s_andn2_b64 exec, exec, s[2:3]
	s_cbranch_execz .LBB35_375
.LBB35_372:                             ; =>This Inner Loop Header: Depth=1
	v_sub_u32_e32 v14, v12, v48
	v_lshrrev_b32_e32 v15, 31, v14
	v_add_u32_e32 v14, v14, v15
	v_ashrrev_i32_e32 v14, 1, v14
	v_add_u32_e32 v14, v14, v48
	v_lshl_add_u32 v15, v14, 3, v44
	v_not_b32_e32 v16, v14
	v_lshl_add_u32 v16, v16, 3, v13
	ds_read_b32 v17, v15
	ds_read_b32 v18, v16
	s_or_b64 s[4:5], s[4:5], exec
	s_waitcnt lgkmcnt(0)
	v_cmp_nlt_f32_e32 vcc, v18, v17
	s_and_saveexec_b64 s[6:7], vcc
	s_cbranch_execz .LBB35_371
; %bb.373:                              ;   in Loop: Header=BB35_372 Depth=1
	v_cmp_eq_f32_e32 vcc, v18, v17
	s_mov_b64 s[8:9], 0
	s_and_saveexec_b64 s[10:11], vcc
	s_cbranch_execz .LBB35_370
; %bb.374:                              ;   in Loop: Header=BB35_372 Depth=1
	ds_read_b32 v16, v16 offset:4
	ds_read_b32 v15, v15 offset:4
	s_waitcnt lgkmcnt(0)
	v_cmp_lt_f32_e32 vcc, v16, v15
	s_and_b64 s[8:9], vcc, exec
	s_branch .LBB35_370
.LBB35_375:
	s_or_b64 exec, exec, s[2:3]
.LBB35_376:
	s_or_b64 exec, exec, s[0:1]
	v_sub_u32_e32 v16, v45, v48
	v_lshl_add_u32 v18, v48, 3, v44
	v_lshl_add_u32 v20, v16, 3, v44
	ds_read_b64 v[12:13], v18
	ds_read_b64 v[14:15], v20 offset:1024
	v_add_u32_e32 v45, 0x80, v16
	s_movk_i32 s1, 0x100
	s_movk_i32 s0, 0x80
	v_cmp_gt_i32_e32 vcc, s1, v45
	s_mov_b64 s[2:3], 0
	s_and_saveexec_b64 s[4:5], vcc
	s_cbranch_execz .LBB35_382
; %bb.377:
	v_cmp_gt_i32_e32 vcc, s0, v48
	s_waitcnt lgkmcnt(0)
	v_cmp_nlt_f32_e64 s[0:1], v14, v12
	s_and_b64 s[6:7], vcc, s[0:1]
	s_mov_b64 s[2:3], -1
	s_and_saveexec_b64 s[0:1], s[6:7]
	s_cbranch_execz .LBB35_381
; %bb.378:
	v_cmp_eq_f32_e32 vcc, v14, v12
	s_mov_b64 s[2:3], 0
	s_and_saveexec_b64 s[6:7], vcc
; %bb.379:
	v_cmp_lt_f32_e32 vcc, v15, v13
	s_and_b64 s[2:3], vcc, exec
; %bb.380:
	s_or_b64 exec, exec, s[6:7]
	s_orn2_b64 s[2:3], s[2:3], exec
.LBB35_381:
	s_or_b64 exec, exec, s[0:1]
	s_and_b64 s[2:3], s[2:3], exec
.LBB35_382:
	s_or_b64 exec, exec, s[4:5]
	s_xor_b64 s[0:1], s[2:3], -1
                                        ; implicit-def: $vgpr16_vgpr17
	s_and_saveexec_b64 s[4:5], s[0:1]
	s_xor_b64 s[0:1], exec, s[4:5]
	s_cbranch_execz .LBB35_384
; %bb.383:
	ds_read_b64 v[16:17], v18 offset:8
                                        ; implicit-def: $vgpr20
.LBB35_384:
	s_or_saveexec_b64 s[0:1], s[0:1]
	s_waitcnt lgkmcnt(0)
	v_pk_mov_b32 v[18:19], v[14:15], v[14:15] op_sel:[0,1]
	s_xor_b64 exec, exec, s[0:1]
	s_cbranch_execz .LBB35_386
; %bb.385:
	ds_read_b64 v[18:19], v20 offset:1032
	v_pk_mov_b32 v[16:17], v[12:13], v[12:13] op_sel:[0,1]
.LBB35_386:
	s_or_b64 exec, exec, s[0:1]
	v_add_u32_e32 v20, 1, v45
	v_add_u32_e32 v21, 1, v48
	v_cndmask_b32_e64 v46, v45, v20, s[2:3]
	s_movk_i32 s0, 0x100
	v_cndmask_b32_e64 v49, v21, v48, s[2:3]
	v_cmp_gt_i32_e32 vcc, s0, v46
	s_mov_b64 s[4:5], 0
	s_and_saveexec_b64 s[6:7], vcc
	s_cbranch_execz .LBB35_392
; %bb.387:
	s_movk_i32 s0, 0x80
	v_cmp_gt_i32_e32 vcc, s0, v49
	s_waitcnt lgkmcnt(0)
	v_cmp_nlt_f32_e64 s[0:1], v18, v16
	s_and_b64 s[8:9], vcc, s[0:1]
	s_mov_b64 s[4:5], -1
	s_and_saveexec_b64 s[0:1], s[8:9]
	s_cbranch_execz .LBB35_391
; %bb.388:
	v_cmp_eq_f32_e32 vcc, v18, v16
	s_mov_b64 s[4:5], 0
	s_and_saveexec_b64 s[8:9], vcc
; %bb.389:
	v_cmp_lt_f32_e32 vcc, v19, v17
	s_and_b64 s[4:5], vcc, exec
; %bb.390:
	s_or_b64 exec, exec, s[8:9]
	s_orn2_b64 s[4:5], s[4:5], exec
.LBB35_391:
	s_or_b64 exec, exec, s[0:1]
	s_and_b64 s[4:5], s[4:5], exec
.LBB35_392:
	s_or_b64 exec, exec, s[6:7]
	s_xor_b64 s[0:1], s[4:5], -1
                                        ; implicit-def: $vgpr20_vgpr21
	s_and_saveexec_b64 s[6:7], s[0:1]
	s_xor_b64 s[0:1], exec, s[6:7]
	s_cbranch_execz .LBB35_394
; %bb.393:
	v_lshl_add_u32 v20, v49, 3, v44
	ds_read_b64 v[20:21], v20 offset:8
.LBB35_394:
	s_or_saveexec_b64 s[0:1], s[0:1]
	s_waitcnt lgkmcnt(0)
	v_pk_mov_b32 v[22:23], v[18:19], v[18:19] op_sel:[0,1]
	s_xor_b64 exec, exec, s[0:1]
	s_cbranch_execz .LBB35_396
; %bb.395:
	v_lshl_add_u32 v20, v46, 3, v44
	ds_read_b64 v[22:23], v20 offset:8
	v_pk_mov_b32 v[20:21], v[16:17], v[16:17] op_sel:[0,1]
.LBB35_396:
	s_or_b64 exec, exec, s[0:1]
	v_add_u32_e32 v24, 1, v46
	v_add_u32_e32 v25, 1, v49
	v_cndmask_b32_e64 v50, v46, v24, s[4:5]
	s_movk_i32 s0, 0x100
	v_cndmask_b32_e64 v51, v25, v49, s[4:5]
	v_cmp_gt_i32_e32 vcc, s0, v50
	s_mov_b64 s[6:7], 0
	s_and_saveexec_b64 s[8:9], vcc
	s_cbranch_execz .LBB35_402
; %bb.397:
	s_movk_i32 s0, 0x80
	v_cmp_gt_i32_e32 vcc, s0, v51
	s_waitcnt lgkmcnt(0)
	v_cmp_nlt_f32_e64 s[0:1], v22, v20
	s_and_b64 s[10:11], vcc, s[0:1]
	s_mov_b64 s[6:7], -1
	s_and_saveexec_b64 s[0:1], s[10:11]
	s_cbranch_execz .LBB35_401
; %bb.398:
	v_cmp_eq_f32_e32 vcc, v22, v20
	s_mov_b64 s[6:7], 0
	s_and_saveexec_b64 s[10:11], vcc
; %bb.399:
	v_cmp_lt_f32_e32 vcc, v23, v21
	s_and_b64 s[6:7], vcc, exec
; %bb.400:
	s_or_b64 exec, exec, s[10:11]
	s_orn2_b64 s[6:7], s[6:7], exec
.LBB35_401:
	s_or_b64 exec, exec, s[0:1]
	s_and_b64 s[6:7], s[6:7], exec
.LBB35_402:
	s_or_b64 exec, exec, s[8:9]
	s_xor_b64 s[0:1], s[6:7], -1
                                        ; implicit-def: $vgpr24_vgpr25
	s_and_saveexec_b64 s[8:9], s[0:1]
	s_xor_b64 s[0:1], exec, s[8:9]
	s_cbranch_execz .LBB35_404
; %bb.403:
	v_lshl_add_u32 v24, v51, 3, v44
	ds_read_b64 v[24:25], v24 offset:8
.LBB35_404:
	s_or_saveexec_b64 s[0:1], s[0:1]
	s_waitcnt lgkmcnt(0)
	v_pk_mov_b32 v[26:27], v[22:23], v[22:23] op_sel:[0,1]
	s_xor_b64 exec, exec, s[0:1]
	s_cbranch_execz .LBB35_406
; %bb.405:
	v_lshl_add_u32 v24, v50, 3, v44
	ds_read_b64 v[26:27], v24 offset:8
	v_pk_mov_b32 v[24:25], v[20:21], v[20:21] op_sel:[0,1]
.LBB35_406:
	s_or_b64 exec, exec, s[0:1]
	v_add_u32_e32 v28, 1, v50
	v_add_u32_e32 v29, 1, v51
	v_cndmask_b32_e64 v52, v50, v28, s[6:7]
	s_movk_i32 s0, 0x100
	v_cndmask_b32_e64 v53, v29, v51, s[6:7]
	v_cmp_gt_i32_e32 vcc, s0, v52
	s_mov_b64 s[8:9], 0
	s_and_saveexec_b64 s[10:11], vcc
	s_cbranch_execz .LBB35_412
; %bb.407:
	s_movk_i32 s0, 0x80
	v_cmp_gt_i32_e32 vcc, s0, v53
	s_waitcnt lgkmcnt(0)
	v_cmp_nlt_f32_e64 s[0:1], v26, v24
	s_and_b64 s[12:13], vcc, s[0:1]
	s_mov_b64 s[8:9], -1
	s_and_saveexec_b64 s[0:1], s[12:13]
	s_cbranch_execz .LBB35_411
; %bb.408:
	v_cmp_eq_f32_e32 vcc, v26, v24
	s_mov_b64 s[8:9], 0
	s_and_saveexec_b64 s[12:13], vcc
; %bb.409:
	v_cmp_lt_f32_e32 vcc, v27, v25
	s_and_b64 s[8:9], vcc, exec
; %bb.410:
	s_or_b64 exec, exec, s[12:13]
	s_orn2_b64 s[8:9], s[8:9], exec
.LBB35_411:
	s_or_b64 exec, exec, s[0:1]
	s_and_b64 s[8:9], s[8:9], exec
.LBB35_412:
	s_or_b64 exec, exec, s[10:11]
	s_xor_b64 s[0:1], s[8:9], -1
                                        ; implicit-def: $vgpr28_vgpr29
	s_and_saveexec_b64 s[10:11], s[0:1]
	s_xor_b64 s[0:1], exec, s[10:11]
	s_cbranch_execz .LBB35_414
; %bb.413:
	v_lshl_add_u32 v28, v53, 3, v44
	ds_read_b64 v[28:29], v28 offset:8
.LBB35_414:
	s_or_saveexec_b64 s[0:1], s[0:1]
	s_waitcnt lgkmcnt(0)
	v_pk_mov_b32 v[30:31], v[26:27], v[26:27] op_sel:[0,1]
	s_xor_b64 exec, exec, s[0:1]
	s_cbranch_execz .LBB35_416
; %bb.415:
	v_lshl_add_u32 v28, v52, 3, v44
	ds_read_b64 v[30:31], v28 offset:8
	v_pk_mov_b32 v[28:29], v[24:25], v[24:25] op_sel:[0,1]
.LBB35_416:
	s_or_b64 exec, exec, s[0:1]
	v_add_u32_e32 v32, 1, v52
	v_add_u32_e32 v33, 1, v53
	v_cndmask_b32_e64 v54, v52, v32, s[8:9]
	s_movk_i32 s0, 0x100
	v_cndmask_b32_e64 v55, v33, v53, s[8:9]
	v_cmp_gt_i32_e32 vcc, s0, v54
	s_mov_b64 s[10:11], 0
	s_and_saveexec_b64 s[12:13], vcc
	s_cbranch_execz .LBB35_422
; %bb.417:
	s_movk_i32 s0, 0x80
	v_cmp_gt_i32_e32 vcc, s0, v55
	s_waitcnt lgkmcnt(0)
	v_cmp_nlt_f32_e64 s[0:1], v30, v28
	s_and_b64 s[14:15], vcc, s[0:1]
	s_mov_b64 s[10:11], -1
	s_and_saveexec_b64 s[0:1], s[14:15]
	s_cbranch_execz .LBB35_421
; %bb.418:
	v_cmp_eq_f32_e32 vcc, v30, v28
	s_mov_b64 s[10:11], 0
	s_and_saveexec_b64 s[14:15], vcc
; %bb.419:
	v_cmp_lt_f32_e32 vcc, v31, v29
	s_and_b64 s[10:11], vcc, exec
; %bb.420:
	s_or_b64 exec, exec, s[14:15]
	s_orn2_b64 s[10:11], s[10:11], exec
.LBB35_421:
	s_or_b64 exec, exec, s[0:1]
	s_and_b64 s[10:11], s[10:11], exec
.LBB35_422:
	s_or_b64 exec, exec, s[12:13]
	s_xor_b64 s[0:1], s[10:11], -1
                                        ; implicit-def: $vgpr32_vgpr33
	s_and_saveexec_b64 s[12:13], s[0:1]
	s_xor_b64 s[0:1], exec, s[12:13]
	s_cbranch_execz .LBB35_424
; %bb.423:
	v_lshl_add_u32 v32, v55, 3, v44
	ds_read_b64 v[32:33], v32 offset:8
.LBB35_424:
	s_or_saveexec_b64 s[0:1], s[0:1]
	s_waitcnt lgkmcnt(0)
	v_pk_mov_b32 v[34:35], v[30:31], v[30:31] op_sel:[0,1]
	s_xor_b64 exec, exec, s[0:1]
	s_cbranch_execz .LBB35_426
; %bb.425:
	v_lshl_add_u32 v32, v54, 3, v44
	ds_read_b64 v[34:35], v32 offset:8
	v_pk_mov_b32 v[32:33], v[28:29], v[28:29] op_sel:[0,1]
.LBB35_426:
	s_or_b64 exec, exec, s[0:1]
	v_add_u32_e32 v36, 1, v54
	v_add_u32_e32 v37, 1, v55
	v_cndmask_b32_e64 v56, v54, v36, s[10:11]
	s_movk_i32 s0, 0x100
	v_cndmask_b32_e64 v57, v37, v55, s[10:11]
	v_cmp_gt_i32_e32 vcc, s0, v56
	s_mov_b64 s[12:13], 0
	s_and_saveexec_b64 s[14:15], vcc
	s_cbranch_execz .LBB35_432
; %bb.427:
	s_movk_i32 s0, 0x80
	v_cmp_gt_i32_e32 vcc, s0, v57
	s_waitcnt lgkmcnt(0)
	v_cmp_nlt_f32_e64 s[0:1], v34, v32
	s_and_b64 s[16:17], vcc, s[0:1]
	s_mov_b64 s[12:13], -1
	s_and_saveexec_b64 s[0:1], s[16:17]
	s_cbranch_execz .LBB35_431
; %bb.428:
	v_cmp_eq_f32_e32 vcc, v34, v32
	s_mov_b64 s[12:13], 0
	s_and_saveexec_b64 s[16:17], vcc
; %bb.429:
	v_cmp_lt_f32_e32 vcc, v35, v33
	s_and_b64 s[12:13], vcc, exec
; %bb.430:
	s_or_b64 exec, exec, s[16:17]
	s_orn2_b64 s[12:13], s[12:13], exec
.LBB35_431:
	s_or_b64 exec, exec, s[0:1]
	s_and_b64 s[12:13], s[12:13], exec
.LBB35_432:
	s_or_b64 exec, exec, s[14:15]
	s_xor_b64 s[0:1], s[12:13], -1
                                        ; implicit-def: $vgpr36_vgpr37
	s_and_saveexec_b64 s[14:15], s[0:1]
	s_xor_b64 s[0:1], exec, s[14:15]
	s_cbranch_execz .LBB35_434
; %bb.433:
	v_lshl_add_u32 v36, v57, 3, v44
	ds_read_b64 v[36:37], v36 offset:8
.LBB35_434:
	s_or_saveexec_b64 s[0:1], s[0:1]
	s_waitcnt lgkmcnt(0)
	v_pk_mov_b32 v[38:39], v[34:35], v[34:35] op_sel:[0,1]
	s_xor_b64 exec, exec, s[0:1]
	s_cbranch_execz .LBB35_436
; %bb.435:
	v_lshl_add_u32 v36, v56, 3, v44
	ds_read_b64 v[38:39], v36 offset:8
	v_pk_mov_b32 v[36:37], v[32:33], v[32:33] op_sel:[0,1]
.LBB35_436:
	s_or_b64 exec, exec, s[0:1]
	v_add_u32_e32 v40, 1, v56
	v_add_u32_e32 v41, 1, v57
	v_cndmask_b32_e64 v58, v56, v40, s[12:13]
	s_movk_i32 s0, 0x100
	v_cndmask_b32_e64 v59, v41, v57, s[12:13]
	v_cmp_gt_i32_e32 vcc, s0, v58
	s_mov_b64 s[14:15], 0
	s_and_saveexec_b64 s[16:17], vcc
	s_cbranch_execz .LBB35_442
; %bb.437:
	s_movk_i32 s0, 0x80
	v_cmp_gt_i32_e32 vcc, s0, v59
	s_waitcnt lgkmcnt(0)
	v_cmp_nlt_f32_e64 s[0:1], v38, v36
	s_and_b64 s[18:19], vcc, s[0:1]
	s_mov_b64 s[14:15], -1
	s_and_saveexec_b64 s[0:1], s[18:19]
	s_cbranch_execz .LBB35_441
; %bb.438:
	v_cmp_eq_f32_e32 vcc, v38, v36
	s_mov_b64 s[14:15], 0
	s_and_saveexec_b64 s[18:19], vcc
; %bb.439:
	v_cmp_lt_f32_e32 vcc, v39, v37
	s_and_b64 s[14:15], vcc, exec
; %bb.440:
	s_or_b64 exec, exec, s[18:19]
	s_orn2_b64 s[14:15], s[14:15], exec
.LBB35_441:
	s_or_b64 exec, exec, s[0:1]
	s_and_b64 s[14:15], s[14:15], exec
.LBB35_442:
	s_or_b64 exec, exec, s[16:17]
	s_xor_b64 s[0:1], s[14:15], -1
                                        ; implicit-def: $vgpr40_vgpr41
	s_and_saveexec_b64 s[16:17], s[0:1]
	s_xor_b64 s[0:1], exec, s[16:17]
	s_cbranch_execz .LBB35_444
; %bb.443:
	v_lshl_add_u32 v40, v59, 3, v44
	ds_read_b64 v[40:41], v40 offset:8
.LBB35_444:
	s_or_saveexec_b64 s[0:1], s[0:1]
	s_waitcnt lgkmcnt(0)
	v_pk_mov_b32 v[42:43], v[38:39], v[38:39] op_sel:[0,1]
	s_xor_b64 exec, exec, s[0:1]
	s_cbranch_execz .LBB35_446
; %bb.445:
	v_lshl_add_u32 v40, v58, 3, v44
	ds_read_b64 v[42:43], v40 offset:8
	v_pk_mov_b32 v[40:41], v[36:37], v[36:37] op_sel:[0,1]
.LBB35_446:
	s_or_b64 exec, exec, s[0:1]
	v_add_u32_e32 v60, 1, v58
	v_add_u32_e32 v61, 1, v59
	v_cndmask_b32_e64 v60, v58, v60, s[14:15]
	s_movk_i32 s0, 0x100
	v_cndmask_b32_e64 v61, v61, v59, s[14:15]
	v_cmp_gt_i32_e32 vcc, s0, v60
	s_mov_b64 s[0:1], 0
	s_and_saveexec_b64 s[16:17], vcc
	s_cbranch_execz .LBB35_452
; %bb.447:
	s_movk_i32 s0, 0x80
	v_cmp_gt_i32_e32 vcc, s0, v61
	s_waitcnt lgkmcnt(0)
	v_cmp_nlt_f32_e64 s[0:1], v42, v40
	s_and_b64 s[20:21], vcc, s[0:1]
	s_mov_b64 s[18:19], -1
	s_and_saveexec_b64 s[0:1], s[20:21]
	s_cbranch_execz .LBB35_451
; %bb.448:
	v_cmp_eq_f32_e32 vcc, v42, v40
	s_mov_b64 s[18:19], 0
	s_and_saveexec_b64 s[20:21], vcc
; %bb.449:
	v_cmp_lt_f32_e32 vcc, v43, v41
	s_and_b64 s[18:19], vcc, exec
; %bb.450:
	s_or_b64 exec, exec, s[20:21]
	s_orn2_b64 s[18:19], s[18:19], exec
.LBB35_451:
	s_or_b64 exec, exec, s[0:1]
	s_and_b64 s[0:1], s[18:19], exec
.LBB35_452:
	s_or_b64 exec, exec, s[16:17]
	v_cndmask_b32_e64 v25, v25, v27, s[8:9]
	v_cndmask_b32_e64 v24, v24, v26, s[8:9]
	;; [unrolled: 1-line block ×16, first 2 shown]
	; wave barrier
	ds_write2_b64 v47, v[2:3], v[6:7] offset1:1
	ds_write2_b64 v47, v[0:1], v[4:5] offset0:2 offset1:3
	v_lshl_add_u32 v0, v26, 2, v44
	v_lshl_add_u32 v1, v21, 2, v44
	;; [unrolled: 1-line block ×8, first 2 shown]
	; wave barrier
	ds_read_b32 v0, v0
	ds_read_b32 v1, v1
	;; [unrolled: 1-line block ×8, first 2 shown]
	v_cndmask_b32_e64 v37, v37, v39, s[14:15]
	v_cndmask_b32_e64 v36, v36, v38, s[14:15]
	;; [unrolled: 1-line block ×6, first 2 shown]
	s_waitcnt lgkmcnt(10)
	v_cndmask_b32_e64 v39, v41, v43, s[0:1]
	v_cndmask_b32_e64 v38, v40, v42, s[0:1]
	global_store_dwordx4 v[10:11], v[14:17], off
	global_store_dwordx4 v[10:11], v[22:25], off offset:16
	global_store_dwordx4 v[10:11], v[30:33], off offset:32
	;; [unrolled: 1-line block ×3, first 2 shown]
	s_waitcnt lgkmcnt(4)
	global_store_dwordx4 v[8:9], v[0:3], off
	s_waitcnt lgkmcnt(0)
	global_store_dwordx4 v[8:9], v[4:7], off offset:16
	s_endpgm
	.section	.rodata,"a",@progbits
	.p2align	6, 0x0
	.amdhsa_kernel _Z21sort_keys_values_fullILj256ELj32ELj8ELb0EN10test_utils16custom_test_typeIfEEiNS0_4lessEEvPT3_PT4_T5_
		.amdhsa_group_segment_fixed_size 16448
		.amdhsa_private_segment_fixed_size 0
		.amdhsa_kernarg_size 20
		.amdhsa_user_sgpr_count 6
		.amdhsa_user_sgpr_private_segment_buffer 1
		.amdhsa_user_sgpr_dispatch_ptr 0
		.amdhsa_user_sgpr_queue_ptr 0
		.amdhsa_user_sgpr_kernarg_segment_ptr 1
		.amdhsa_user_sgpr_dispatch_id 0
		.amdhsa_user_sgpr_flat_scratch_init 0
		.amdhsa_user_sgpr_kernarg_preload_length 0
		.amdhsa_user_sgpr_kernarg_preload_offset 0
		.amdhsa_user_sgpr_private_segment_size 0
		.amdhsa_uses_dynamic_stack 0
		.amdhsa_system_sgpr_private_segment_wavefront_offset 0
		.amdhsa_system_sgpr_workgroup_id_x 1
		.amdhsa_system_sgpr_workgroup_id_y 0
		.amdhsa_system_sgpr_workgroup_id_z 0
		.amdhsa_system_sgpr_workgroup_info 0
		.amdhsa_system_vgpr_workitem_id 0
		.amdhsa_next_free_vgpr 67
		.amdhsa_next_free_sgpr 80
		.amdhsa_accum_offset 68
		.amdhsa_reserve_vcc 1
		.amdhsa_reserve_flat_scratch 0
		.amdhsa_float_round_mode_32 0
		.amdhsa_float_round_mode_16_64 0
		.amdhsa_float_denorm_mode_32 3
		.amdhsa_float_denorm_mode_16_64 3
		.amdhsa_dx10_clamp 1
		.amdhsa_ieee_mode 1
		.amdhsa_fp16_overflow 0
		.amdhsa_tg_split 0
		.amdhsa_exception_fp_ieee_invalid_op 0
		.amdhsa_exception_fp_denorm_src 0
		.amdhsa_exception_fp_ieee_div_zero 0
		.amdhsa_exception_fp_ieee_overflow 0
		.amdhsa_exception_fp_ieee_underflow 0
		.amdhsa_exception_fp_ieee_inexact 0
		.amdhsa_exception_int_div_zero 0
	.end_amdhsa_kernel
	.section	.text._Z21sort_keys_values_fullILj256ELj32ELj8ELb0EN10test_utils16custom_test_typeIfEEiNS0_4lessEEvPT3_PT4_T5_,"axG",@progbits,_Z21sort_keys_values_fullILj256ELj32ELj8ELb0EN10test_utils16custom_test_typeIfEEiNS0_4lessEEvPT3_PT4_T5_,comdat
.Lfunc_end35:
	.size	_Z21sort_keys_values_fullILj256ELj32ELj8ELb0EN10test_utils16custom_test_typeIfEEiNS0_4lessEEvPT3_PT4_T5_, .Lfunc_end35-_Z21sort_keys_values_fullILj256ELj32ELj8ELb0EN10test_utils16custom_test_typeIfEEiNS0_4lessEEvPT3_PT4_T5_
                                        ; -- End function
	.section	.AMDGPU.csdata,"",@progbits
; Kernel info:
; codeLenInByte = 13684
; NumSgprs: 84
; NumVgprs: 67
; NumAgprs: 0
; TotalNumVgprs: 67
; ScratchSize: 0
; MemoryBound: 0
; FloatMode: 240
; IeeeMode: 1
; LDSByteSize: 16448 bytes/workgroup (compile time only)
; SGPRBlocks: 10
; VGPRBlocks: 8
; NumSGPRsForWavesPerEU: 84
; NumVGPRsForWavesPerEU: 67
; AccumOffset: 68
; Occupancy: 3
; WaveLimiterHint : 0
; COMPUTE_PGM_RSRC2:SCRATCH_EN: 0
; COMPUTE_PGM_RSRC2:USER_SGPR: 6
; COMPUTE_PGM_RSRC2:TRAP_HANDLER: 0
; COMPUTE_PGM_RSRC2:TGID_X_EN: 1
; COMPUTE_PGM_RSRC2:TGID_Y_EN: 0
; COMPUTE_PGM_RSRC2:TGID_Z_EN: 0
; COMPUTE_PGM_RSRC2:TIDIG_COMP_CNT: 0
; COMPUTE_PGM_RSRC3_GFX90A:ACCUM_OFFSET: 16
; COMPUTE_PGM_RSRC3_GFX90A:TG_SPLIT: 0
	.section	.text._Z21sort_keys_values_fullILj256ELj32ELj4ELb0EN10test_utils16custom_test_typeIfEEiNS0_4lessEEvPT3_PT4_T5_,"axG",@progbits,_Z21sort_keys_values_fullILj256ELj32ELj4ELb0EN10test_utils16custom_test_typeIfEEiNS0_4lessEEvPT3_PT4_T5_,comdat
	.protected	_Z21sort_keys_values_fullILj256ELj32ELj4ELb0EN10test_utils16custom_test_typeIfEEiNS0_4lessEEvPT3_PT4_T5_ ; -- Begin function _Z21sort_keys_values_fullILj256ELj32ELj4ELb0EN10test_utils16custom_test_typeIfEEiNS0_4lessEEvPT3_PT4_T5_
	.globl	_Z21sort_keys_values_fullILj256ELj32ELj4ELb0EN10test_utils16custom_test_typeIfEEiNS0_4lessEEvPT3_PT4_T5_
	.p2align	8
	.type	_Z21sort_keys_values_fullILj256ELj32ELj4ELb0EN10test_utils16custom_test_typeIfEEiNS0_4lessEEvPT3_PT4_T5_,@function
_Z21sort_keys_values_fullILj256ELj32ELj4ELb0EN10test_utils16custom_test_typeIfEEiNS0_4lessEEvPT3_PT4_T5_: ; @_Z21sort_keys_values_fullILj256ELj32ELj4ELb0EN10test_utils16custom_test_typeIfEEiNS0_4lessEEvPT3_PT4_T5_
; %bb.0:
	s_load_dwordx4 s[0:3], s[4:5], 0x0
	s_lshl_b32 s4, s6, 10
	s_mov_b32 s5, 0
	s_lshl_b64 s[6:7], s[4:5], 3
	v_lshlrev_b32_e32 v4, 5, v0
	s_waitcnt lgkmcnt(0)
	s_add_u32 s0, s0, s6
	s_addc_u32 s1, s1, s7
	global_load_dwordx4 v[18:21], v4, s[0:1]
	global_load_dwordx4 v[30:33], v4, s[0:1] offset:16
	s_lshl_b64 s[4:5], s[4:5], 2
	v_mbcnt_lo_u32_b32 v1, -1, 0
	s_add_u32 s2, s2, s4
	v_lshlrev_b32_e32 v6, 4, v0
	v_lshrrev_b32_e32 v8, 5, v0
	v_mbcnt_hi_u32_b32 v0, -1, v1
	s_addc_u32 s3, s3, s5
	v_lshlrev_b32_e32 v27, 2, v0
	global_load_dwordx4 v[0:3], v6, s[2:3]
	v_and_b32_e32 v25, 0x7c, v27
	s_movk_i32 s6, 0x408
	v_lshlrev_b32_e32 v5, 3, v25
	v_and_b32_e32 v16, 0x78, v27
	v_mad_u32_u24 v26, v8, s6, v5
	v_mov_b32_e32 v5, s1
	v_add_co_u32_e32 v4, vcc, s0, v4
	v_lshlrev_b32_e32 v7, 3, v16
	v_addc_co_u32_e32 v5, vcc, 0, v5, vcc
	v_mad_u32_u24 v9, v8, s6, v7
	v_mov_b32_e32 v7, s3
	v_add_co_u32_e32 v6, vcc, s2, v6
	v_addc_co_u32_e32 v7, vcc, 0, v7, vcc
	v_or_b32_e32 v28, 4, v16
	v_add_u32_e32 v29, 8, v16
	v_and_b32_e32 v12, 4, v27
	v_sub_u32_e32 v17, v29, v28
	v_sub_u32_e32 v13, v28, v16
	;; [unrolled: 1-line block ×3, first 2 shown]
	; wave barrier
	s_waitcnt vmcnt(2)
	v_cmp_neq_f32_e64 s[0:1], v20, v18
	v_cmp_nlt_f32_e64 s[2:3], v21, v19
	s_waitcnt vmcnt(1)
	v_cmp_neq_f32_e64 s[6:7], v32, v30
	v_cmp_nlt_f32_e64 s[8:9], v33, v31
	v_cmp_nlt_f32_e32 vcc, v20, v18
	v_cmp_nlt_f32_e64 s[4:5], v32, v30
	s_or_b64 s[0:1], s[0:1], s[2:3]
	s_or_b64 s[2:3], s[6:7], s[8:9]
	s_and_b64 vcc, vcc, s[0:1]
	s_and_b64 s[0:1], s[4:5], s[2:3]
	v_cndmask_b32_e64 v10, v33, v31, s[0:1]
	v_cndmask_b32_e32 v23, v20, v18, vcc
	v_cndmask_b32_e32 v11, v19, v21, vcc
	;; [unrolled: 1-line block ×3, first 2 shown]
	v_cndmask_b32_e64 v18, v32, v30, s[0:1]
	v_cmp_neq_f32_e64 s[4:5], v18, v15
	v_cmp_nlt_f32_e64 s[6:7], v10, v11
	v_cmp_nlt_f32_e64 s[2:3], v18, v15
	s_or_b64 s[4:5], s[4:5], s[6:7]
	s_and_b64 s[2:3], s[2:3], s[4:5]
	v_cndmask_b32_e32 v14, v21, v19, vcc
	v_cndmask_b32_e64 v19, v31, v33, s[0:1]
	v_cndmask_b32_e64 v20, v30, v32, s[0:1]
	;; [unrolled: 1-line block ×6, first 2 shown]
	v_cmp_nlt_f32_e64 s[4:5], v21, v14
	v_cmp_neq_f32_e64 s[8:9], v24, v23
	v_cmp_neq_f32_e64 s[12:13], v20, v18
	v_cmp_nlt_f32_e64 s[14:15], v19, v30
	v_cmp_nlt_f32_e64 s[6:7], v24, v23
	;; [unrolled: 1-line block ×3, first 2 shown]
	s_or_b64 s[4:5], s[8:9], s[4:5]
	s_or_b64 s[8:9], s[12:13], s[14:15]
	s_and_b64 s[4:5], s[6:7], s[4:5]
	s_and_b64 s[6:7], s[10:11], s[8:9]
	v_cndmask_b32_e64 v11, v21, v14, s[4:5]
	v_cndmask_b32_e64 v10, v24, v23, s[4:5]
	;; [unrolled: 1-line block ×7, first 2 shown]
	v_cmp_neq_f32_e64 s[10:11], v20, v23
	v_cmp_nlt_f32_e64 s[12:13], v24, v21
	v_cmp_nlt_f32_e64 s[8:9], v20, v23
	s_or_b64 s[10:11], s[10:11], s[12:13]
	s_and_b64 s[8:9], s[8:9], s[10:11]
	v_cndmask_b32_e64 v15, v30, v19, s[6:7]
	v_cndmask_b32_e64 v19, v24, v21, s[8:9]
	;; [unrolled: 1-line block ×3, first 2 shown]
	v_cmp_ge_i32_e64 s[10:11], v12, v17
	v_cndmask_b32_e64 v21, v21, v24, s[8:9]
	v_cndmask_b32_e64 v20, v23, v20, s[8:9]
	ds_write2_b64 v26, v[10:11], v[18:19] offset1:1
	ds_write2_b64 v26, v[20:21], v[14:15] offset0:2 offset1:3
	v_cndmask_b32_e64 v17, 0, v22, s[10:11]
	v_min_i32_e32 v10, v12, v13
	v_cmp_lt_i32_e64 s[10:11], v17, v10
	; wave barrier
	s_and_saveexec_b64 s[12:13], s[10:11]
	s_cbranch_execz .LBB36_8
; %bb.1:
	v_lshlrev_b32_e32 v11, 3, v12
	v_add3_u32 v11, v9, v11, 32
	s_mov_b64 s[14:15], 0
                                        ; implicit-def: $sgpr16_sgpr17
	s_branch .LBB36_4
.LBB36_2:                               ;   in Loop: Header=BB36_4 Depth=1
	s_or_b64 exec, exec, s[22:23]
	s_andn2_b64 s[10:11], s[16:17], exec
	s_and_b64 s[16:17], s[20:21], exec
	s_or_b64 s[16:17], s[10:11], s[16:17]
.LBB36_3:                               ;   in Loop: Header=BB36_4 Depth=1
	s_or_b64 exec, exec, s[18:19]
	v_add_u32_e32 v14, 1, v13
	v_cndmask_b32_e64 v10, v10, v13, s[16:17]
	v_cndmask_b32_e64 v17, v14, v17, s[16:17]
	v_cmp_ge_i32_e64 s[10:11], v17, v10
	s_or_b64 s[14:15], s[10:11], s[14:15]
	s_andn2_b64 exec, exec, s[14:15]
	s_cbranch_execz .LBB36_7
.LBB36_4:                               ; =>This Inner Loop Header: Depth=1
	v_sub_u32_e32 v13, v10, v17
	v_lshrrev_b32_e32 v14, 31, v13
	v_add_u32_e32 v13, v13, v14
	v_ashrrev_i32_e32 v13, 1, v13
	v_add_u32_e32 v13, v13, v17
	v_lshl_add_u32 v14, v13, 3, v9
	v_not_b32_e32 v15, v13
	v_lshl_add_u32 v15, v15, 3, v11
	ds_read_b32 v18, v14
	ds_read_b32 v19, v15
	s_or_b64 s[16:17], s[16:17], exec
	s_waitcnt lgkmcnt(0)
	v_cmp_nlt_f32_e64 s[10:11], v19, v18
	s_and_saveexec_b64 s[18:19], s[10:11]
	s_cbranch_execz .LBB36_3
; %bb.5:                                ;   in Loop: Header=BB36_4 Depth=1
	v_cmp_eq_f32_e64 s[10:11], v19, v18
	s_mov_b64 s[20:21], 0
	s_and_saveexec_b64 s[22:23], s[10:11]
	s_cbranch_execz .LBB36_2
; %bb.6:                                ;   in Loop: Header=BB36_4 Depth=1
	ds_read_b32 v15, v15 offset:4
	ds_read_b32 v14, v14 offset:4
	s_waitcnt lgkmcnt(0)
	v_cmp_lt_f32_e64 s[10:11], v15, v14
	s_and_b64 s[20:21], s[10:11], exec
	s_branch .LBB36_2
.LBB36_7:
	s_or_b64 exec, exec, s[14:15]
.LBB36_8:
	s_or_b64 exec, exec, s[12:13]
	v_mul_u32_u24_e32 v24, 0x408, v8
	v_add_u32_e32 v8, v16, v12
	v_lshl_add_u32 v14, v17, 3, v9
	v_sub_u32_e32 v8, v8, v17
	v_lshl_add_u32 v18, v8, 3, v24
	ds_read_b64 v[8:9], v14
	ds_read_b64 v[10:11], v18 offset:32
	v_add_u32_e32 v12, v28, v12
	v_sub_u32_e32 v30, v12, v17
	v_cmp_le_i32_e64 s[10:11], v29, v30
                                        ; implicit-def: $sgpr14_sgpr15
	s_and_saveexec_b64 s[12:13], s[10:11]
	s_xor_b64 s[10:11], exec, s[12:13]
; %bb.9:
	s_mov_b64 s[14:15], 0
; %bb.10:
	s_andn2_saveexec_b64 s[16:17], s[10:11]
	s_cbranch_execz .LBB36_16
; %bb.11:
	v_cmp_gt_i32_e64 s[10:11], 4, v17
	s_waitcnt lgkmcnt(0)
	v_cmp_nlt_f32_e64 s[12:13], v10, v8
	s_and_b64 s[18:19], s[10:11], s[12:13]
	s_mov_b64 s[10:11], -1
	s_and_saveexec_b64 s[12:13], s[18:19]
	s_cbranch_execz .LBB36_15
; %bb.12:
	v_cmp_eq_f32_e64 s[10:11], v10, v8
	s_mov_b64 s[18:19], 0
	s_and_saveexec_b64 s[20:21], s[10:11]
; %bb.13:
	v_cmp_lt_f32_e64 s[10:11], v11, v9
	s_and_b64 s[18:19], s[10:11], exec
; %bb.14:
	s_or_b64 exec, exec, s[20:21]
	s_orn2_b64 s[10:11], s[18:19], exec
.LBB36_15:
	s_or_b64 exec, exec, s[12:13]
	s_andn2_b64 s[12:13], s[14:15], exec
	s_and_b64 s[10:11], s[10:11], exec
	s_or_b64 s[14:15], s[12:13], s[10:11]
.LBB36_16:
	s_or_b64 exec, exec, s[16:17]
	s_xor_b64 s[10:11], s[14:15], -1
                                        ; implicit-def: $vgpr12_vgpr13
	s_and_saveexec_b64 s[12:13], s[10:11]
	s_xor_b64 s[10:11], exec, s[12:13]
	s_cbranch_execz .LBB36_18
; %bb.17:
	ds_read_b64 v[12:13], v14 offset:8
                                        ; implicit-def: $vgpr18
.LBB36_18:
	s_or_saveexec_b64 s[10:11], s[10:11]
	s_waitcnt lgkmcnt(0)
	v_pk_mov_b32 v[14:15], v[10:11], v[10:11] op_sel:[0,1]
	s_xor_b64 exec, exec, s[10:11]
	s_cbranch_execz .LBB36_20
; %bb.19:
	ds_read_b64 v[14:15], v18 offset:40
	v_pk_mov_b32 v[12:13], v[8:9], v[8:9] op_sel:[0,1]
.LBB36_20:
	s_or_b64 exec, exec, s[10:11]
	v_add_u32_e32 v31, v17, v16
	v_add_u32_e32 v16, 1, v30
	;; [unrolled: 1-line block ×3, first 2 shown]
	v_cndmask_b32_e64 v32, v30, v16, s[14:15]
	v_cndmask_b32_e64 v33, v17, v31, s[14:15]
	v_cmp_lt_i32_e64 s[10:11], v32, v29
	s_mov_b64 s[16:17], 0
	s_and_saveexec_b64 s[18:19], s[10:11]
	s_cbranch_execz .LBB36_26
; %bb.21:
	v_cmp_lt_i32_e64 s[10:11], v33, v28
	s_waitcnt lgkmcnt(0)
	v_cmp_nlt_f32_e64 s[12:13], v14, v12
	s_and_b64 s[16:17], s[10:11], s[12:13]
	s_mov_b64 s[10:11], -1
	s_and_saveexec_b64 s[12:13], s[16:17]
	s_cbranch_execz .LBB36_25
; %bb.22:
	v_cmp_eq_f32_e64 s[10:11], v14, v12
	s_mov_b64 s[16:17], 0
	s_and_saveexec_b64 s[20:21], s[10:11]
; %bb.23:
	v_cmp_lt_f32_e64 s[10:11], v15, v13
	s_and_b64 s[16:17], s[10:11], exec
; %bb.24:
	s_or_b64 exec, exec, s[20:21]
	s_orn2_b64 s[10:11], s[16:17], exec
.LBB36_25:
	s_or_b64 exec, exec, s[12:13]
	s_and_b64 s[16:17], s[10:11], exec
.LBB36_26:
	s_or_b64 exec, exec, s[18:19]
	s_xor_b64 s[10:11], s[16:17], -1
                                        ; implicit-def: $vgpr16_vgpr17
	s_and_saveexec_b64 s[12:13], s[10:11]
	s_xor_b64 s[10:11], exec, s[12:13]
	s_cbranch_execz .LBB36_28
; %bb.27:
	v_lshl_add_u32 v16, v33, 3, v24
	ds_read_b64 v[16:17], v16 offset:8
.LBB36_28:
	s_or_saveexec_b64 s[10:11], s[10:11]
	s_waitcnt lgkmcnt(0)
	v_pk_mov_b32 v[18:19], v[14:15], v[14:15] op_sel:[0,1]
	s_xor_b64 exec, exec, s[10:11]
	s_cbranch_execz .LBB36_30
; %bb.29:
	v_lshl_add_u32 v16, v32, 3, v24
	ds_read_b64 v[18:19], v16 offset:8
	v_pk_mov_b32 v[16:17], v[12:13], v[12:13] op_sel:[0,1]
.LBB36_30:
	s_or_b64 exec, exec, s[10:11]
	v_add_u32_e32 v21, 1, v32
	v_cndmask_b32_e64 v34, v32, v21, s[16:17]
	v_add_u32_e32 v20, 1, v33
	v_cmp_ge_i32_e64 s[10:11], v34, v29
                                        ; implicit-def: $sgpr18_sgpr19
	s_and_saveexec_b64 s[12:13], s[10:11]
	s_xor_b64 s[10:11], exec, s[12:13]
; %bb.31:
	s_mov_b64 s[18:19], 0
; %bb.32:
	s_or_saveexec_b64 s[20:21], s[10:11]
	v_cndmask_b32_e64 v35, v20, v33, s[16:17]
	s_xor_b64 exec, exec, s[20:21]
	s_cbranch_execz .LBB36_38
; %bb.33:
	v_cmp_lt_i32_e64 s[10:11], v35, v28
	s_waitcnt lgkmcnt(0)
	v_cmp_nlt_f32_e64 s[12:13], v18, v16
	s_and_b64 s[22:23], s[10:11], s[12:13]
	s_mov_b64 s[10:11], -1
	s_and_saveexec_b64 s[12:13], s[22:23]
	s_cbranch_execz .LBB36_37
; %bb.34:
	v_cmp_eq_f32_e64 s[10:11], v18, v16
	s_mov_b64 s[22:23], 0
	s_and_saveexec_b64 s[24:25], s[10:11]
; %bb.35:
	v_cmp_lt_f32_e64 s[10:11], v19, v17
	s_and_b64 s[22:23], s[10:11], exec
; %bb.36:
	s_or_b64 exec, exec, s[24:25]
	s_orn2_b64 s[10:11], s[22:23], exec
.LBB36_37:
	s_or_b64 exec, exec, s[12:13]
	s_andn2_b64 s[12:13], s[18:19], exec
	s_and_b64 s[10:11], s[10:11], exec
	s_or_b64 s[18:19], s[12:13], s[10:11]
.LBB36_38:
	s_or_b64 exec, exec, s[20:21]
	s_xor_b64 s[10:11], s[18:19], -1
                                        ; implicit-def: $vgpr20_vgpr21
	s_and_saveexec_b64 s[12:13], s[10:11]
	s_xor_b64 s[10:11], exec, s[12:13]
	s_cbranch_execz .LBB36_40
; %bb.39:
	v_lshl_add_u32 v20, v35, 3, v24
	ds_read_b64 v[20:21], v20 offset:8
.LBB36_40:
	s_or_saveexec_b64 s[10:11], s[10:11]
	s_waitcnt lgkmcnt(0)
	v_pk_mov_b32 v[22:23], v[18:19], v[18:19] op_sel:[0,1]
	s_xor_b64 exec, exec, s[10:11]
	s_cbranch_execz .LBB36_42
; %bb.41:
	v_lshl_add_u32 v20, v34, 3, v24
	ds_read_b64 v[22:23], v20 offset:8
	v_pk_mov_b32 v[20:21], v[16:17], v[16:17] op_sel:[0,1]
.LBB36_42:
	s_or_b64 exec, exec, s[10:11]
	v_add_u32_e32 v36, 1, v34
	v_add_u32_e32 v37, 1, v35
	v_cndmask_b32_e64 v36, v34, v36, s[18:19]
	v_cndmask_b32_e64 v37, v37, v35, s[18:19]
	v_cmp_lt_i32_e64 s[10:11], v36, v29
	s_mov_b64 s[12:13], 0
	s_and_saveexec_b64 s[20:21], s[10:11]
	s_cbranch_execz .LBB36_48
; %bb.43:
	v_cmp_lt_i32_e64 s[10:11], v37, v28
	s_waitcnt lgkmcnt(0)
	v_cmp_nlt_f32_e64 s[12:13], v22, v20
	s_and_b64 s[22:23], s[10:11], s[12:13]
	s_mov_b64 s[10:11], -1
	s_and_saveexec_b64 s[12:13], s[22:23]
	s_cbranch_execz .LBB36_47
; %bb.44:
	v_cmp_eq_f32_e64 s[10:11], v22, v20
	s_mov_b64 s[22:23], 0
	s_and_saveexec_b64 s[24:25], s[10:11]
; %bb.45:
	v_cmp_lt_f32_e64 s[10:11], v23, v21
	s_and_b64 s[22:23], s[10:11], exec
; %bb.46:
	s_or_b64 exec, exec, s[24:25]
	s_orn2_b64 s[10:11], s[22:23], exec
.LBB36_47:
	s_or_b64 exec, exec, s[12:13]
	s_and_b64 s[12:13], s[10:11], exec
.LBB36_48:
	s_or_b64 exec, exec, s[20:21]
	v_cndmask_b32_e64 v10, v8, v10, s[14:15]
	s_waitcnt vmcnt(0)
	v_cndmask_b32_e32 v8, v1, v0, vcc
	v_cndmask_b32_e32 v0, v0, v1, vcc
	v_cndmask_b32_e64 v1, v2, v3, s[0:1]
	v_cndmask_b32_e64 v2, v3, v2, s[0:1]
	;; [unrolled: 1-line block ×11, first 2 shown]
	v_lshlrev_b32_e32 v8, 2, v25
	v_cndmask_b32_e64 v16, v16, v18, s[18:19]
	v_cndmask_b32_e64 v17, v17, v19, s[18:19]
	;; [unrolled: 1-line block ×7, first 2 shown]
	s_waitcnt lgkmcnt(0)
	v_cndmask_b32_e64 v15, v21, v23, s[12:13]
	v_cndmask_b32_e64 v14, v20, v22, s[12:13]
	;; [unrolled: 1-line block ×3, first 2 shown]
	v_sub_u32_e32 v21, v26, v8
	; wave barrier
	ds_write2_b64 v21, v[0:1], v[2:3] offset1:1
	v_lshl_add_u32 v0, v9, 2, v24
	v_lshl_add_u32 v1, v19, 2, v24
	;; [unrolled: 1-line block ×4, first 2 shown]
	; wave barrier
	ds_read_b32 v0, v0
	ds_read_b32 v1, v1
	;; [unrolled: 1-line block ×4, first 2 shown]
	; wave barrier
	ds_write2_b64 v26, v[10:11], v[12:13] offset1:1
	ds_write2_b64 v26, v[16:17], v[14:15] offset0:2 offset1:3
	v_and_b32_e32 v16, 0x70, v27
	v_or_b32_e32 v28, 8, v16
	v_add_u32_e32 v29, 16, v16
	v_and_b32_e32 v12, 12, v27
	v_sub_u32_e32 v11, v29, v28
	v_sub_u32_e32 v10, v28, v16
	;; [unrolled: 1-line block ×3, first 2 shown]
	v_cmp_ge_i32_e32 vcc, v12, v11
	v_cndmask_b32_e32 v17, 0, v13, vcc
	v_min_i32_e32 v10, v12, v10
	v_lshl_add_u32 v9, v16, 3, v24
	v_cmp_lt_i32_e32 vcc, v17, v10
	; wave barrier
	s_and_saveexec_b64 s[0:1], vcc
	s_cbranch_execz .LBB36_56
; %bb.49:
	v_lshlrev_b32_e32 v11, 3, v12
	v_add3_u32 v11, v9, v11, 64
	s_mov_b64 s[2:3], 0
                                        ; implicit-def: $sgpr4_sgpr5
	s_branch .LBB36_52
.LBB36_50:                              ;   in Loop: Header=BB36_52 Depth=1
	s_or_b64 exec, exec, s[10:11]
	s_andn2_b64 s[4:5], s[4:5], exec
	s_and_b64 s[8:9], s[8:9], exec
	s_or_b64 s[4:5], s[4:5], s[8:9]
.LBB36_51:                              ;   in Loop: Header=BB36_52 Depth=1
	s_or_b64 exec, exec, s[6:7]
	v_add_u32_e32 v14, 1, v13
	v_cndmask_b32_e64 v10, v10, v13, s[4:5]
	v_cndmask_b32_e64 v17, v14, v17, s[4:5]
	v_cmp_ge_i32_e32 vcc, v17, v10
	s_or_b64 s[2:3], vcc, s[2:3]
	s_andn2_b64 exec, exec, s[2:3]
	s_cbranch_execz .LBB36_55
.LBB36_52:                              ; =>This Inner Loop Header: Depth=1
	v_sub_u32_e32 v13, v10, v17
	v_lshrrev_b32_e32 v14, 31, v13
	v_add_u32_e32 v13, v13, v14
	v_ashrrev_i32_e32 v13, 1, v13
	v_add_u32_e32 v13, v13, v17
	v_lshl_add_u32 v14, v13, 3, v9
	v_not_b32_e32 v15, v13
	v_lshl_add_u32 v15, v15, 3, v11
	ds_read_b32 v18, v14
	ds_read_b32 v19, v15
	s_or_b64 s[4:5], s[4:5], exec
	s_waitcnt lgkmcnt(0)
	v_cmp_nlt_f32_e32 vcc, v19, v18
	s_and_saveexec_b64 s[6:7], vcc
	s_cbranch_execz .LBB36_51
; %bb.53:                               ;   in Loop: Header=BB36_52 Depth=1
	v_cmp_eq_f32_e32 vcc, v19, v18
	s_mov_b64 s[8:9], 0
	s_and_saveexec_b64 s[10:11], vcc
	s_cbranch_execz .LBB36_50
; %bb.54:                               ;   in Loop: Header=BB36_52 Depth=1
	ds_read_b32 v15, v15 offset:4
	ds_read_b32 v14, v14 offset:4
	s_waitcnt lgkmcnt(0)
	v_cmp_lt_f32_e32 vcc, v15, v14
	s_and_b64 s[8:9], vcc, exec
	s_branch .LBB36_50
.LBB36_55:
	s_or_b64 exec, exec, s[2:3]
.LBB36_56:
	s_or_b64 exec, exec, s[0:1]
	v_sub_u32_e32 v30, 0, v8
	v_add_u32_e32 v8, v16, v12
	v_lshl_add_u32 v14, v17, 3, v9
	v_sub_u32_e32 v8, v8, v17
	v_lshl_add_u32 v18, v8, 3, v24
	ds_read_b64 v[8:9], v14
	ds_read_b64 v[10:11], v18 offset:64
	v_add_u32_e32 v12, v28, v12
	v_sub_u32_e32 v31, v12, v17
	v_cmp_le_i32_e32 vcc, v29, v31
                                        ; implicit-def: $sgpr2_sgpr3
	s_and_saveexec_b64 s[0:1], vcc
	s_xor_b64 s[0:1], exec, s[0:1]
; %bb.57:
	s_mov_b64 s[2:3], 0
; %bb.58:
	s_andn2_saveexec_b64 s[4:5], s[0:1]
	s_cbranch_execz .LBB36_64
; %bb.59:
	v_cmp_gt_i32_e32 vcc, 8, v17
	s_waitcnt lgkmcnt(0)
	v_cmp_nlt_f32_e64 s[0:1], v10, v8
	s_and_b64 s[8:9], vcc, s[0:1]
	s_mov_b64 s[6:7], -1
	s_and_saveexec_b64 s[0:1], s[8:9]
	s_cbranch_execz .LBB36_63
; %bb.60:
	v_cmp_eq_f32_e32 vcc, v10, v8
	s_mov_b64 s[6:7], 0
	s_and_saveexec_b64 s[8:9], vcc
; %bb.61:
	v_cmp_lt_f32_e32 vcc, v11, v9
	s_and_b64 s[6:7], vcc, exec
; %bb.62:
	s_or_b64 exec, exec, s[8:9]
	s_orn2_b64 s[6:7], s[6:7], exec
.LBB36_63:
	s_or_b64 exec, exec, s[0:1]
	s_andn2_b64 s[0:1], s[2:3], exec
	s_and_b64 s[2:3], s[6:7], exec
	s_or_b64 s[2:3], s[0:1], s[2:3]
.LBB36_64:
	s_or_b64 exec, exec, s[4:5]
	s_xor_b64 s[0:1], s[2:3], -1
                                        ; implicit-def: $vgpr12_vgpr13
	s_and_saveexec_b64 s[4:5], s[0:1]
	s_xor_b64 s[0:1], exec, s[4:5]
	s_cbranch_execz .LBB36_66
; %bb.65:
	ds_read_b64 v[12:13], v14 offset:8
                                        ; implicit-def: $vgpr18
.LBB36_66:
	s_or_saveexec_b64 s[0:1], s[0:1]
	s_waitcnt lgkmcnt(0)
	v_pk_mov_b32 v[14:15], v[10:11], v[10:11] op_sel:[0,1]
	s_xor_b64 exec, exec, s[0:1]
	s_cbranch_execz .LBB36_68
; %bb.67:
	ds_read_b64 v[14:15], v18 offset:72
	v_pk_mov_b32 v[12:13], v[8:9], v[8:9] op_sel:[0,1]
.LBB36_68:
	s_or_b64 exec, exec, s[0:1]
	v_add_u32_e32 v32, v17, v16
	v_add_u32_e32 v16, 1, v31
	;; [unrolled: 1-line block ×3, first 2 shown]
	v_cndmask_b32_e64 v33, v31, v16, s[2:3]
	v_cndmask_b32_e64 v34, v17, v32, s[2:3]
	v_cmp_lt_i32_e32 vcc, v33, v29
	s_mov_b64 s[4:5], 0
	s_and_saveexec_b64 s[6:7], vcc
	s_cbranch_execz .LBB36_74
; %bb.69:
	v_cmp_lt_i32_e32 vcc, v34, v28
	s_waitcnt lgkmcnt(0)
	v_cmp_nlt_f32_e64 s[0:1], v14, v12
	s_and_b64 s[8:9], vcc, s[0:1]
	s_mov_b64 s[4:5], -1
	s_and_saveexec_b64 s[0:1], s[8:9]
	s_cbranch_execz .LBB36_73
; %bb.70:
	v_cmp_eq_f32_e32 vcc, v14, v12
	s_mov_b64 s[4:5], 0
	s_and_saveexec_b64 s[8:9], vcc
; %bb.71:
	v_cmp_lt_f32_e32 vcc, v15, v13
	s_and_b64 s[4:5], vcc, exec
; %bb.72:
	s_or_b64 exec, exec, s[8:9]
	s_orn2_b64 s[4:5], s[4:5], exec
.LBB36_73:
	s_or_b64 exec, exec, s[0:1]
	s_and_b64 s[4:5], s[4:5], exec
.LBB36_74:
	s_or_b64 exec, exec, s[6:7]
	s_xor_b64 s[0:1], s[4:5], -1
                                        ; implicit-def: $vgpr16_vgpr17
	s_and_saveexec_b64 s[6:7], s[0:1]
	s_xor_b64 s[0:1], exec, s[6:7]
	s_cbranch_execz .LBB36_76
; %bb.75:
	v_lshl_add_u32 v16, v34, 3, v24
	ds_read_b64 v[16:17], v16 offset:8
.LBB36_76:
	s_or_saveexec_b64 s[0:1], s[0:1]
	s_waitcnt lgkmcnt(0)
	v_pk_mov_b32 v[18:19], v[14:15], v[14:15] op_sel:[0,1]
	s_xor_b64 exec, exec, s[0:1]
	s_cbranch_execz .LBB36_78
; %bb.77:
	v_lshl_add_u32 v16, v33, 3, v24
	ds_read_b64 v[18:19], v16 offset:8
	v_pk_mov_b32 v[16:17], v[12:13], v[12:13] op_sel:[0,1]
.LBB36_78:
	s_or_b64 exec, exec, s[0:1]
	v_add_u32_e32 v21, 1, v33
	v_cndmask_b32_e64 v35, v33, v21, s[4:5]
	v_add_u32_e32 v20, 1, v34
	v_cmp_ge_i32_e32 vcc, v35, v29
                                        ; implicit-def: $sgpr6_sgpr7
	s_and_saveexec_b64 s[0:1], vcc
	s_xor_b64 s[0:1], exec, s[0:1]
; %bb.79:
	s_mov_b64 s[6:7], 0
; %bb.80:
	s_or_saveexec_b64 s[8:9], s[0:1]
	v_cndmask_b32_e64 v36, v20, v34, s[4:5]
	s_xor_b64 exec, exec, s[8:9]
	s_cbranch_execz .LBB36_86
; %bb.81:
	v_cmp_lt_i32_e32 vcc, v36, v28
	s_waitcnt lgkmcnt(0)
	v_cmp_nlt_f32_e64 s[0:1], v18, v16
	s_and_b64 s[12:13], vcc, s[0:1]
	s_mov_b64 s[10:11], -1
	s_and_saveexec_b64 s[0:1], s[12:13]
	s_cbranch_execz .LBB36_85
; %bb.82:
	v_cmp_eq_f32_e32 vcc, v18, v16
	s_mov_b64 s[10:11], 0
	s_and_saveexec_b64 s[12:13], vcc
; %bb.83:
	v_cmp_lt_f32_e32 vcc, v19, v17
	s_and_b64 s[10:11], vcc, exec
; %bb.84:
	s_or_b64 exec, exec, s[12:13]
	s_orn2_b64 s[10:11], s[10:11], exec
.LBB36_85:
	s_or_b64 exec, exec, s[0:1]
	s_andn2_b64 s[0:1], s[6:7], exec
	s_and_b64 s[6:7], s[10:11], exec
	s_or_b64 s[6:7], s[0:1], s[6:7]
.LBB36_86:
	s_or_b64 exec, exec, s[8:9]
	s_xor_b64 s[0:1], s[6:7], -1
                                        ; implicit-def: $vgpr20_vgpr21
	s_and_saveexec_b64 s[8:9], s[0:1]
	s_xor_b64 s[0:1], exec, s[8:9]
	s_cbranch_execz .LBB36_88
; %bb.87:
	v_lshl_add_u32 v20, v36, 3, v24
	ds_read_b64 v[20:21], v20 offset:8
.LBB36_88:
	s_or_saveexec_b64 s[0:1], s[0:1]
	s_waitcnt lgkmcnt(0)
	v_pk_mov_b32 v[22:23], v[18:19], v[18:19] op_sel:[0,1]
	s_xor_b64 exec, exec, s[0:1]
	s_cbranch_execz .LBB36_90
; %bb.89:
	v_lshl_add_u32 v20, v35, 3, v24
	ds_read_b64 v[22:23], v20 offset:8
	v_pk_mov_b32 v[20:21], v[16:17], v[16:17] op_sel:[0,1]
.LBB36_90:
	s_or_b64 exec, exec, s[0:1]
	v_add_u32_e32 v37, 1, v35
	v_add_u32_e32 v38, 1, v36
	v_cndmask_b32_e64 v37, v35, v37, s[6:7]
	v_cndmask_b32_e64 v38, v38, v36, s[6:7]
	v_cmp_lt_i32_e32 vcc, v37, v29
	s_mov_b64 s[0:1], 0
	s_and_saveexec_b64 s[8:9], vcc
	s_cbranch_execz .LBB36_96
; %bb.91:
	v_cmp_lt_i32_e32 vcc, v38, v28
	s_waitcnt lgkmcnt(0)
	v_cmp_nlt_f32_e64 s[0:1], v22, v20
	s_and_b64 s[12:13], vcc, s[0:1]
	s_mov_b64 s[10:11], -1
	s_and_saveexec_b64 s[0:1], s[12:13]
	s_cbranch_execz .LBB36_95
; %bb.92:
	v_cmp_eq_f32_e32 vcc, v22, v20
	s_mov_b64 s[10:11], 0
	s_and_saveexec_b64 s[12:13], vcc
; %bb.93:
	v_cmp_lt_f32_e32 vcc, v23, v21
	s_and_b64 s[10:11], vcc, exec
; %bb.94:
	s_or_b64 exec, exec, s[12:13]
	s_orn2_b64 s[10:11], s[10:11], exec
.LBB36_95:
	s_or_b64 exec, exec, s[0:1]
	s_and_b64 s[0:1], s[10:11], exec
.LBB36_96:
	s_or_b64 exec, exec, s[8:9]
	v_cndmask_b32_e64 v16, v16, v18, s[6:7]
	v_cndmask_b32_e64 v17, v17, v19, s[6:7]
	;; [unrolled: 1-line block ×8, first 2 shown]
	v_add_u32_e32 v28, v26, v30
	; wave barrier
	ds_write2_b64 v28, v[0:1], v[2:3] offset1:1
	v_lshl_add_u32 v0, v15, 2, v24
	v_lshl_add_u32 v1, v14, 2, v24
	;; [unrolled: 1-line block ×4, first 2 shown]
	v_cndmask_b32_e64 v8, v8, v10, s[2:3]
	v_cndmask_b32_e64 v9, v9, v11, s[2:3]
	; wave barrier
	ds_read_b32 v0, v0
	ds_read_b32 v1, v1
	;; [unrolled: 1-line block ×4, first 2 shown]
	s_waitcnt lgkmcnt(5)
	v_cndmask_b32_e64 v11, v21, v23, s[0:1]
	v_cndmask_b32_e64 v10, v20, v22, s[0:1]
	; wave barrier
	ds_write2_b64 v26, v[8:9], v[12:13] offset1:1
	ds_write2_b64 v26, v[16:17], v[10:11] offset0:2 offset1:3
	v_and_b32_e32 v16, 0x60, v27
	v_or_b32_e32 v29, 16, v16
	v_add_u32_e32 v30, 32, v16
	v_and_b32_e32 v12, 28, v27
	v_sub_u32_e32 v10, v30, v29
	v_sub_u32_e32 v9, v29, v16
	;; [unrolled: 1-line block ×3, first 2 shown]
	v_cmp_ge_i32_e32 vcc, v12, v10
	v_cndmask_b32_e32 v17, 0, v11, vcc
	v_min_i32_e32 v9, v12, v9
	v_lshl_add_u32 v8, v16, 3, v24
	v_cmp_lt_i32_e32 vcc, v17, v9
	; wave barrier
	s_and_saveexec_b64 s[0:1], vcc
	s_cbranch_execz .LBB36_104
; %bb.97:
	v_lshlrev_b32_e32 v10, 3, v12
	s_movk_i32 s2, 0x80
	v_add3_u32 v10, v8, v10, s2
	s_mov_b64 s[2:3], 0
                                        ; implicit-def: $sgpr4_sgpr5
	s_branch .LBB36_100
.LBB36_98:                              ;   in Loop: Header=BB36_100 Depth=1
	s_or_b64 exec, exec, s[10:11]
	s_andn2_b64 s[4:5], s[4:5], exec
	s_and_b64 s[8:9], s[8:9], exec
	s_or_b64 s[4:5], s[4:5], s[8:9]
.LBB36_99:                              ;   in Loop: Header=BB36_100 Depth=1
	s_or_b64 exec, exec, s[6:7]
	v_add_u32_e32 v13, 1, v11
	v_cndmask_b32_e64 v9, v9, v11, s[4:5]
	v_cndmask_b32_e64 v17, v13, v17, s[4:5]
	v_cmp_ge_i32_e32 vcc, v17, v9
	s_or_b64 s[2:3], vcc, s[2:3]
	s_andn2_b64 exec, exec, s[2:3]
	s_cbranch_execz .LBB36_103
.LBB36_100:                             ; =>This Inner Loop Header: Depth=1
	v_sub_u32_e32 v11, v9, v17
	v_lshrrev_b32_e32 v13, 31, v11
	v_add_u32_e32 v11, v11, v13
	v_ashrrev_i32_e32 v11, 1, v11
	v_add_u32_e32 v11, v11, v17
	v_lshl_add_u32 v13, v11, 3, v8
	v_not_b32_e32 v14, v11
	v_lshl_add_u32 v14, v14, 3, v10
	ds_read_b32 v15, v13
	ds_read_b32 v18, v14
	s_or_b64 s[4:5], s[4:5], exec
	s_waitcnt lgkmcnt(0)
	v_cmp_nlt_f32_e32 vcc, v18, v15
	s_and_saveexec_b64 s[6:7], vcc
	s_cbranch_execz .LBB36_99
; %bb.101:                              ;   in Loop: Header=BB36_100 Depth=1
	v_cmp_eq_f32_e32 vcc, v18, v15
	s_mov_b64 s[8:9], 0
	s_and_saveexec_b64 s[10:11], vcc
	s_cbranch_execz .LBB36_98
; %bb.102:                              ;   in Loop: Header=BB36_100 Depth=1
	ds_read_b32 v14, v14 offset:4
	ds_read_b32 v13, v13 offset:4
	s_waitcnt lgkmcnt(0)
	v_cmp_lt_f32_e32 vcc, v14, v13
	s_and_b64 s[8:9], vcc, exec
	s_branch .LBB36_98
.LBB36_103:
	s_or_b64 exec, exec, s[2:3]
.LBB36_104:
	s_or_b64 exec, exec, s[0:1]
	v_lshl_add_u32 v14, v17, 3, v8
	v_add_u32_e32 v8, v16, v12
	v_sub_u32_e32 v8, v8, v17
	v_lshl_add_u32 v18, v8, 3, v24
	ds_read_b64 v[8:9], v14
	ds_read_b64 v[10:11], v18 offset:128
	v_add_u32_e32 v12, v29, v12
	v_sub_u32_e32 v31, v12, v17
	v_cmp_le_i32_e32 vcc, v30, v31
                                        ; implicit-def: $sgpr2_sgpr3
	s_and_saveexec_b64 s[0:1], vcc
	s_xor_b64 s[0:1], exec, s[0:1]
; %bb.105:
	s_mov_b64 s[2:3], 0
; %bb.106:
	s_andn2_saveexec_b64 s[4:5], s[0:1]
	s_cbranch_execz .LBB36_112
; %bb.107:
	v_cmp_gt_i32_e32 vcc, 16, v17
	s_waitcnt lgkmcnt(0)
	v_cmp_nlt_f32_e64 s[0:1], v10, v8
	s_and_b64 s[8:9], vcc, s[0:1]
	s_mov_b64 s[6:7], -1
	s_and_saveexec_b64 s[0:1], s[8:9]
	s_cbranch_execz .LBB36_111
; %bb.108:
	v_cmp_eq_f32_e32 vcc, v10, v8
	s_mov_b64 s[6:7], 0
	s_and_saveexec_b64 s[8:9], vcc
; %bb.109:
	v_cmp_lt_f32_e32 vcc, v11, v9
	s_and_b64 s[6:7], vcc, exec
; %bb.110:
	s_or_b64 exec, exec, s[8:9]
	s_orn2_b64 s[6:7], s[6:7], exec
.LBB36_111:
	s_or_b64 exec, exec, s[0:1]
	s_andn2_b64 s[0:1], s[2:3], exec
	s_and_b64 s[2:3], s[6:7], exec
	s_or_b64 s[2:3], s[0:1], s[2:3]
.LBB36_112:
	s_or_b64 exec, exec, s[4:5]
	s_xor_b64 s[0:1], s[2:3], -1
                                        ; implicit-def: $vgpr12_vgpr13
	s_and_saveexec_b64 s[4:5], s[0:1]
	s_xor_b64 s[0:1], exec, s[4:5]
	s_cbranch_execz .LBB36_114
; %bb.113:
	ds_read_b64 v[12:13], v14 offset:8
                                        ; implicit-def: $vgpr18
.LBB36_114:
	s_or_saveexec_b64 s[0:1], s[0:1]
	s_waitcnt lgkmcnt(0)
	v_pk_mov_b32 v[14:15], v[10:11], v[10:11] op_sel:[0,1]
	s_xor_b64 exec, exec, s[0:1]
	s_cbranch_execz .LBB36_116
; %bb.115:
	ds_read_b64 v[14:15], v18 offset:136
	v_pk_mov_b32 v[12:13], v[8:9], v[8:9] op_sel:[0,1]
.LBB36_116:
	s_or_b64 exec, exec, s[0:1]
	v_add_u32_e32 v32, v17, v16
	v_add_u32_e32 v16, 1, v31
	v_add_u32_e32 v17, 1, v32
	v_cndmask_b32_e64 v33, v31, v16, s[2:3]
	v_cndmask_b32_e64 v34, v17, v32, s[2:3]
	v_cmp_lt_i32_e32 vcc, v33, v30
	s_mov_b64 s[4:5], 0
	s_and_saveexec_b64 s[6:7], vcc
	s_cbranch_execz .LBB36_122
; %bb.117:
	v_cmp_lt_i32_e32 vcc, v34, v29
	s_waitcnt lgkmcnt(0)
	v_cmp_nlt_f32_e64 s[0:1], v14, v12
	s_and_b64 s[8:9], vcc, s[0:1]
	s_mov_b64 s[4:5], -1
	s_and_saveexec_b64 s[0:1], s[8:9]
	s_cbranch_execz .LBB36_121
; %bb.118:
	v_cmp_eq_f32_e32 vcc, v14, v12
	s_mov_b64 s[4:5], 0
	s_and_saveexec_b64 s[8:9], vcc
; %bb.119:
	v_cmp_lt_f32_e32 vcc, v15, v13
	s_and_b64 s[4:5], vcc, exec
; %bb.120:
	s_or_b64 exec, exec, s[8:9]
	s_orn2_b64 s[4:5], s[4:5], exec
.LBB36_121:
	s_or_b64 exec, exec, s[0:1]
	s_and_b64 s[4:5], s[4:5], exec
.LBB36_122:
	s_or_b64 exec, exec, s[6:7]
	s_xor_b64 s[0:1], s[4:5], -1
                                        ; implicit-def: $vgpr16_vgpr17
	s_and_saveexec_b64 s[6:7], s[0:1]
	s_xor_b64 s[0:1], exec, s[6:7]
	s_cbranch_execz .LBB36_124
; %bb.123:
	v_lshl_add_u32 v16, v34, 3, v24
	ds_read_b64 v[16:17], v16 offset:8
.LBB36_124:
	s_or_saveexec_b64 s[0:1], s[0:1]
	s_waitcnt lgkmcnt(0)
	v_pk_mov_b32 v[18:19], v[14:15], v[14:15] op_sel:[0,1]
	s_xor_b64 exec, exec, s[0:1]
	s_cbranch_execz .LBB36_126
; %bb.125:
	v_lshl_add_u32 v16, v33, 3, v24
	ds_read_b64 v[18:19], v16 offset:8
	v_pk_mov_b32 v[16:17], v[12:13], v[12:13] op_sel:[0,1]
.LBB36_126:
	s_or_b64 exec, exec, s[0:1]
	v_add_u32_e32 v21, 1, v33
	v_cndmask_b32_e64 v35, v33, v21, s[4:5]
	v_add_u32_e32 v20, 1, v34
	v_cmp_ge_i32_e32 vcc, v35, v30
                                        ; implicit-def: $sgpr6_sgpr7
	s_and_saveexec_b64 s[0:1], vcc
	s_xor_b64 s[0:1], exec, s[0:1]
; %bb.127:
	s_mov_b64 s[6:7], 0
; %bb.128:
	s_or_saveexec_b64 s[8:9], s[0:1]
	v_cndmask_b32_e64 v36, v20, v34, s[4:5]
	s_xor_b64 exec, exec, s[8:9]
	s_cbranch_execz .LBB36_134
; %bb.129:
	v_cmp_lt_i32_e32 vcc, v36, v29
	s_waitcnt lgkmcnt(0)
	v_cmp_nlt_f32_e64 s[0:1], v18, v16
	s_and_b64 s[12:13], vcc, s[0:1]
	s_mov_b64 s[10:11], -1
	s_and_saveexec_b64 s[0:1], s[12:13]
	s_cbranch_execz .LBB36_133
; %bb.130:
	v_cmp_eq_f32_e32 vcc, v18, v16
	s_mov_b64 s[10:11], 0
	s_and_saveexec_b64 s[12:13], vcc
; %bb.131:
	v_cmp_lt_f32_e32 vcc, v19, v17
	s_and_b64 s[10:11], vcc, exec
; %bb.132:
	s_or_b64 exec, exec, s[12:13]
	s_orn2_b64 s[10:11], s[10:11], exec
.LBB36_133:
	s_or_b64 exec, exec, s[0:1]
	s_andn2_b64 s[0:1], s[6:7], exec
	s_and_b64 s[6:7], s[10:11], exec
	s_or_b64 s[6:7], s[0:1], s[6:7]
.LBB36_134:
	s_or_b64 exec, exec, s[8:9]
	s_xor_b64 s[0:1], s[6:7], -1
                                        ; implicit-def: $vgpr20_vgpr21
	s_and_saveexec_b64 s[8:9], s[0:1]
	s_xor_b64 s[0:1], exec, s[8:9]
	s_cbranch_execz .LBB36_136
; %bb.135:
	v_lshl_add_u32 v20, v36, 3, v24
	ds_read_b64 v[20:21], v20 offset:8
.LBB36_136:
	s_or_saveexec_b64 s[0:1], s[0:1]
	s_waitcnt lgkmcnt(0)
	v_pk_mov_b32 v[22:23], v[18:19], v[18:19] op_sel:[0,1]
	s_xor_b64 exec, exec, s[0:1]
	s_cbranch_execz .LBB36_138
; %bb.137:
	v_lshl_add_u32 v20, v35, 3, v24
	ds_read_b64 v[22:23], v20 offset:8
	v_pk_mov_b32 v[20:21], v[16:17], v[16:17] op_sel:[0,1]
.LBB36_138:
	s_or_b64 exec, exec, s[0:1]
	v_add_u32_e32 v37, 1, v35
	v_add_u32_e32 v38, 1, v36
	v_cndmask_b32_e64 v37, v35, v37, s[6:7]
	v_cndmask_b32_e64 v38, v38, v36, s[6:7]
	v_cmp_lt_i32_e32 vcc, v37, v30
	s_mov_b64 s[0:1], 0
	s_and_saveexec_b64 s[8:9], vcc
	s_cbranch_execz .LBB36_144
; %bb.139:
	v_cmp_lt_i32_e32 vcc, v38, v29
	s_waitcnt lgkmcnt(0)
	v_cmp_nlt_f32_e64 s[0:1], v22, v20
	s_and_b64 s[12:13], vcc, s[0:1]
	s_mov_b64 s[10:11], -1
	s_and_saveexec_b64 s[0:1], s[12:13]
	s_cbranch_execz .LBB36_143
; %bb.140:
	v_cmp_eq_f32_e32 vcc, v22, v20
	s_mov_b64 s[10:11], 0
	s_and_saveexec_b64 s[12:13], vcc
; %bb.141:
	v_cmp_lt_f32_e32 vcc, v23, v21
	s_and_b64 s[10:11], vcc, exec
; %bb.142:
	s_or_b64 exec, exec, s[12:13]
	s_orn2_b64 s[10:11], s[10:11], exec
.LBB36_143:
	s_or_b64 exec, exec, s[0:1]
	s_and_b64 s[0:1], s[10:11], exec
.LBB36_144:
	s_or_b64 exec, exec, s[8:9]
	v_cndmask_b32_e64 v16, v16, v18, s[6:7]
	v_cndmask_b32_e64 v17, v17, v19, s[6:7]
	;; [unrolled: 1-line block ×8, first 2 shown]
	; wave barrier
	ds_write2_b64 v28, v[0:1], v[2:3] offset1:1
	v_lshl_add_u32 v0, v15, 2, v24
	v_lshl_add_u32 v1, v14, 2, v24
	;; [unrolled: 1-line block ×4, first 2 shown]
	v_cndmask_b32_e64 v8, v8, v10, s[2:3]
	v_cndmask_b32_e64 v9, v9, v11, s[2:3]
	; wave barrier
	ds_read_b32 v0, v0
	ds_read_b32 v1, v1
	;; [unrolled: 1-line block ×4, first 2 shown]
	s_waitcnt lgkmcnt(5)
	v_cndmask_b32_e64 v11, v21, v23, s[0:1]
	v_cndmask_b32_e64 v10, v20, v22, s[0:1]
	; wave barrier
	ds_write2_b64 v26, v[8:9], v[12:13] offset1:1
	ds_write2_b64 v26, v[16:17], v[10:11] offset0:2 offset1:3
	v_and_b32_e32 v16, 64, v27
	v_and_b32_e32 v12, 60, v27
	v_or_b32_e32 v27, 32, v16
	v_add_u32_e32 v29, 64, v16
	v_sub_u32_e32 v10, v29, v27
	v_sub_u32_e32 v9, v27, v16
	v_sub_u32_e32 v11, v12, v10
	v_cmp_ge_i32_e32 vcc, v12, v10
	v_cndmask_b32_e32 v17, 0, v11, vcc
	v_min_i32_e32 v9, v12, v9
	v_lshl_add_u32 v8, v16, 3, v24
	v_cmp_lt_i32_e32 vcc, v17, v9
	; wave barrier
	s_and_saveexec_b64 s[0:1], vcc
	s_cbranch_execz .LBB36_152
; %bb.145:
	v_lshlrev_b32_e32 v10, 3, v12
	s_movk_i32 s2, 0x100
	v_add3_u32 v10, v8, v10, s2
	s_mov_b64 s[2:3], 0
                                        ; implicit-def: $sgpr4_sgpr5
	s_branch .LBB36_148
.LBB36_146:                             ;   in Loop: Header=BB36_148 Depth=1
	s_or_b64 exec, exec, s[10:11]
	s_andn2_b64 s[4:5], s[4:5], exec
	s_and_b64 s[8:9], s[8:9], exec
	s_or_b64 s[4:5], s[4:5], s[8:9]
.LBB36_147:                             ;   in Loop: Header=BB36_148 Depth=1
	s_or_b64 exec, exec, s[6:7]
	v_add_u32_e32 v13, 1, v11
	v_cndmask_b32_e64 v9, v9, v11, s[4:5]
	v_cndmask_b32_e64 v17, v13, v17, s[4:5]
	v_cmp_ge_i32_e32 vcc, v17, v9
	s_or_b64 s[2:3], vcc, s[2:3]
	s_andn2_b64 exec, exec, s[2:3]
	s_cbranch_execz .LBB36_151
.LBB36_148:                             ; =>This Inner Loop Header: Depth=1
	v_sub_u32_e32 v11, v9, v17
	v_lshrrev_b32_e32 v13, 31, v11
	v_add_u32_e32 v11, v11, v13
	v_ashrrev_i32_e32 v11, 1, v11
	v_add_u32_e32 v11, v11, v17
	v_lshl_add_u32 v13, v11, 3, v8
	v_not_b32_e32 v14, v11
	v_lshl_add_u32 v14, v14, 3, v10
	ds_read_b32 v15, v13
	ds_read_b32 v18, v14
	s_or_b64 s[4:5], s[4:5], exec
	s_waitcnt lgkmcnt(0)
	v_cmp_nlt_f32_e32 vcc, v18, v15
	s_and_saveexec_b64 s[6:7], vcc
	s_cbranch_execz .LBB36_147
; %bb.149:                              ;   in Loop: Header=BB36_148 Depth=1
	v_cmp_eq_f32_e32 vcc, v18, v15
	s_mov_b64 s[8:9], 0
	s_and_saveexec_b64 s[10:11], vcc
	s_cbranch_execz .LBB36_146
; %bb.150:                              ;   in Loop: Header=BB36_148 Depth=1
	ds_read_b32 v14, v14 offset:4
	ds_read_b32 v13, v13 offset:4
	s_waitcnt lgkmcnt(0)
	v_cmp_lt_f32_e32 vcc, v14, v13
	s_and_b64 s[8:9], vcc, exec
	s_branch .LBB36_146
.LBB36_151:
	s_or_b64 exec, exec, s[2:3]
.LBB36_152:
	s_or_b64 exec, exec, s[0:1]
	v_lshl_add_u32 v14, v17, 3, v8
	v_add_u32_e32 v8, v16, v12
	v_sub_u32_e32 v8, v8, v17
	v_lshl_add_u32 v18, v8, 3, v24
	ds_read_b64 v[8:9], v14
	ds_read_b64 v[10:11], v18 offset:256
	v_add_u32_e32 v12, v27, v12
	v_sub_u32_e32 v30, v12, v17
	v_cmp_le_i32_e32 vcc, v29, v30
                                        ; implicit-def: $sgpr2_sgpr3
	s_and_saveexec_b64 s[0:1], vcc
	s_xor_b64 s[0:1], exec, s[0:1]
; %bb.153:
	s_mov_b64 s[2:3], 0
; %bb.154:
	s_andn2_saveexec_b64 s[4:5], s[0:1]
	s_cbranch_execz .LBB36_160
; %bb.155:
	v_cmp_gt_i32_e32 vcc, 32, v17
	s_waitcnt lgkmcnt(0)
	v_cmp_nlt_f32_e64 s[0:1], v10, v8
	s_and_b64 s[8:9], vcc, s[0:1]
	s_mov_b64 s[6:7], -1
	s_and_saveexec_b64 s[0:1], s[8:9]
	s_cbranch_execz .LBB36_159
; %bb.156:
	v_cmp_eq_f32_e32 vcc, v10, v8
	s_mov_b64 s[6:7], 0
	s_and_saveexec_b64 s[8:9], vcc
; %bb.157:
	v_cmp_lt_f32_e32 vcc, v11, v9
	s_and_b64 s[6:7], vcc, exec
; %bb.158:
	s_or_b64 exec, exec, s[8:9]
	s_orn2_b64 s[6:7], s[6:7], exec
.LBB36_159:
	s_or_b64 exec, exec, s[0:1]
	s_andn2_b64 s[0:1], s[2:3], exec
	s_and_b64 s[2:3], s[6:7], exec
	s_or_b64 s[2:3], s[0:1], s[2:3]
.LBB36_160:
	s_or_b64 exec, exec, s[4:5]
	s_xor_b64 s[0:1], s[2:3], -1
                                        ; implicit-def: $vgpr12_vgpr13
	s_and_saveexec_b64 s[4:5], s[0:1]
	s_xor_b64 s[0:1], exec, s[4:5]
	s_cbranch_execz .LBB36_162
; %bb.161:
	ds_read_b64 v[12:13], v14 offset:8
                                        ; implicit-def: $vgpr18
.LBB36_162:
	s_or_saveexec_b64 s[0:1], s[0:1]
	s_waitcnt lgkmcnt(0)
	v_pk_mov_b32 v[14:15], v[10:11], v[10:11] op_sel:[0,1]
	s_xor_b64 exec, exec, s[0:1]
	s_cbranch_execz .LBB36_164
; %bb.163:
	ds_read_b64 v[14:15], v18 offset:264
	v_pk_mov_b32 v[12:13], v[8:9], v[8:9] op_sel:[0,1]
.LBB36_164:
	s_or_b64 exec, exec, s[0:1]
	v_add_u32_e32 v31, v17, v16
	v_add_u32_e32 v16, 1, v30
	;; [unrolled: 1-line block ×3, first 2 shown]
	v_cndmask_b32_e64 v32, v30, v16, s[2:3]
	v_cndmask_b32_e64 v33, v17, v31, s[2:3]
	v_cmp_lt_i32_e32 vcc, v32, v29
	s_mov_b64 s[4:5], 0
	s_and_saveexec_b64 s[6:7], vcc
	s_cbranch_execz .LBB36_170
; %bb.165:
	v_cmp_lt_i32_e32 vcc, v33, v27
	s_waitcnt lgkmcnt(0)
	v_cmp_nlt_f32_e64 s[0:1], v14, v12
	s_and_b64 s[8:9], vcc, s[0:1]
	s_mov_b64 s[4:5], -1
	s_and_saveexec_b64 s[0:1], s[8:9]
	s_cbranch_execz .LBB36_169
; %bb.166:
	v_cmp_eq_f32_e32 vcc, v14, v12
	s_mov_b64 s[4:5], 0
	s_and_saveexec_b64 s[8:9], vcc
; %bb.167:
	v_cmp_lt_f32_e32 vcc, v15, v13
	s_and_b64 s[4:5], vcc, exec
; %bb.168:
	s_or_b64 exec, exec, s[8:9]
	s_orn2_b64 s[4:5], s[4:5], exec
.LBB36_169:
	s_or_b64 exec, exec, s[0:1]
	s_and_b64 s[4:5], s[4:5], exec
.LBB36_170:
	s_or_b64 exec, exec, s[6:7]
	s_xor_b64 s[0:1], s[4:5], -1
                                        ; implicit-def: $vgpr16_vgpr17
	s_and_saveexec_b64 s[6:7], s[0:1]
	s_xor_b64 s[0:1], exec, s[6:7]
	s_cbranch_execz .LBB36_172
; %bb.171:
	v_lshl_add_u32 v16, v33, 3, v24
	ds_read_b64 v[16:17], v16 offset:8
.LBB36_172:
	s_or_saveexec_b64 s[0:1], s[0:1]
	s_waitcnt lgkmcnt(0)
	v_pk_mov_b32 v[18:19], v[14:15], v[14:15] op_sel:[0,1]
	s_xor_b64 exec, exec, s[0:1]
	s_cbranch_execz .LBB36_174
; %bb.173:
	v_lshl_add_u32 v16, v32, 3, v24
	ds_read_b64 v[18:19], v16 offset:8
	v_pk_mov_b32 v[16:17], v[12:13], v[12:13] op_sel:[0,1]
.LBB36_174:
	s_or_b64 exec, exec, s[0:1]
	v_add_u32_e32 v21, 1, v32
	v_cndmask_b32_e64 v34, v32, v21, s[4:5]
	v_add_u32_e32 v20, 1, v33
	v_cmp_ge_i32_e32 vcc, v34, v29
                                        ; implicit-def: $sgpr6_sgpr7
	s_and_saveexec_b64 s[0:1], vcc
	s_xor_b64 s[0:1], exec, s[0:1]
; %bb.175:
	s_mov_b64 s[6:7], 0
; %bb.176:
	s_or_saveexec_b64 s[8:9], s[0:1]
	v_cndmask_b32_e64 v35, v20, v33, s[4:5]
	s_xor_b64 exec, exec, s[8:9]
	s_cbranch_execz .LBB36_182
; %bb.177:
	v_cmp_lt_i32_e32 vcc, v35, v27
	s_waitcnt lgkmcnt(0)
	v_cmp_nlt_f32_e64 s[0:1], v18, v16
	s_and_b64 s[12:13], vcc, s[0:1]
	s_mov_b64 s[10:11], -1
	s_and_saveexec_b64 s[0:1], s[12:13]
	s_cbranch_execz .LBB36_181
; %bb.178:
	v_cmp_eq_f32_e32 vcc, v18, v16
	s_mov_b64 s[10:11], 0
	s_and_saveexec_b64 s[12:13], vcc
; %bb.179:
	v_cmp_lt_f32_e32 vcc, v19, v17
	s_and_b64 s[10:11], vcc, exec
; %bb.180:
	s_or_b64 exec, exec, s[12:13]
	s_orn2_b64 s[10:11], s[10:11], exec
.LBB36_181:
	s_or_b64 exec, exec, s[0:1]
	s_andn2_b64 s[0:1], s[6:7], exec
	s_and_b64 s[6:7], s[10:11], exec
	s_or_b64 s[6:7], s[0:1], s[6:7]
.LBB36_182:
	s_or_b64 exec, exec, s[8:9]
	s_xor_b64 s[0:1], s[6:7], -1
                                        ; implicit-def: $vgpr20_vgpr21
	s_and_saveexec_b64 s[8:9], s[0:1]
	s_xor_b64 s[0:1], exec, s[8:9]
	s_cbranch_execz .LBB36_184
; %bb.183:
	v_lshl_add_u32 v20, v35, 3, v24
	ds_read_b64 v[20:21], v20 offset:8
.LBB36_184:
	s_or_saveexec_b64 s[0:1], s[0:1]
	s_waitcnt lgkmcnt(0)
	v_pk_mov_b32 v[22:23], v[18:19], v[18:19] op_sel:[0,1]
	s_xor_b64 exec, exec, s[0:1]
	s_cbranch_execz .LBB36_186
; %bb.185:
	v_lshl_add_u32 v20, v34, 3, v24
	ds_read_b64 v[22:23], v20 offset:8
	v_pk_mov_b32 v[20:21], v[16:17], v[16:17] op_sel:[0,1]
.LBB36_186:
	s_or_b64 exec, exec, s[0:1]
	v_add_u32_e32 v36, 1, v34
	v_add_u32_e32 v37, 1, v35
	v_cndmask_b32_e64 v36, v34, v36, s[6:7]
	v_cndmask_b32_e64 v37, v37, v35, s[6:7]
	v_cmp_lt_i32_e32 vcc, v36, v29
	s_mov_b64 s[0:1], 0
	s_and_saveexec_b64 s[8:9], vcc
	s_cbranch_execz .LBB36_192
; %bb.187:
	v_cmp_lt_i32_e32 vcc, v37, v27
	s_waitcnt lgkmcnt(0)
	v_cmp_nlt_f32_e64 s[0:1], v22, v20
	s_and_b64 s[12:13], vcc, s[0:1]
	s_mov_b64 s[10:11], -1
	s_and_saveexec_b64 s[0:1], s[12:13]
	s_cbranch_execz .LBB36_191
; %bb.188:
	v_cmp_eq_f32_e32 vcc, v22, v20
	s_mov_b64 s[10:11], 0
	s_and_saveexec_b64 s[12:13], vcc
; %bb.189:
	v_cmp_lt_f32_e32 vcc, v23, v21
	s_and_b64 s[10:11], vcc, exec
; %bb.190:
	s_or_b64 exec, exec, s[12:13]
	s_orn2_b64 s[10:11], s[10:11], exec
.LBB36_191:
	s_or_b64 exec, exec, s[0:1]
	s_and_b64 s[0:1], s[10:11], exec
.LBB36_192:
	s_or_b64 exec, exec, s[8:9]
	v_cndmask_b32_e64 v16, v16, v18, s[6:7]
	v_cndmask_b32_e64 v17, v17, v19, s[6:7]
	;; [unrolled: 1-line block ×8, first 2 shown]
	; wave barrier
	ds_write2_b64 v28, v[0:1], v[2:3] offset1:1
	v_lshl_add_u32 v0, v15, 2, v24
	v_lshl_add_u32 v1, v14, 2, v24
	;; [unrolled: 1-line block ×4, first 2 shown]
	; wave barrier
	ds_read_b32 v0, v0
	ds_read_b32 v1, v1
	;; [unrolled: 1-line block ×4, first 2 shown]
	v_cndmask_b32_e64 v8, v8, v10, s[2:3]
	v_cndmask_b32_e64 v9, v9, v11, s[2:3]
	s_waitcnt lgkmcnt(5)
	v_cndmask_b32_e64 v11, v21, v23, s[0:1]
	v_cndmask_b32_e64 v10, v20, v22, s[0:1]
	; wave barrier
	ds_write2_b64 v26, v[8:9], v[12:13] offset1:1
	ds_write2_b64 v26, v[16:17], v[10:11] offset0:2 offset1:3
	v_sub_u32_e64 v27, v25, 64 clamp
	v_min_i32_e32 v8, 64, v25
	v_cmp_lt_u32_e32 vcc, v27, v8
	; wave barrier
	s_and_saveexec_b64 s[0:1], vcc
	s_cbranch_execz .LBB36_200
; %bb.193:
	v_add_u32_e32 v9, 0x200, v26
	s_mov_b64 s[2:3], 0
                                        ; implicit-def: $sgpr4_sgpr5
	s_branch .LBB36_196
.LBB36_194:                             ;   in Loop: Header=BB36_196 Depth=1
	s_or_b64 exec, exec, s[10:11]
	s_andn2_b64 s[4:5], s[4:5], exec
	s_and_b64 s[8:9], s[8:9], exec
	s_or_b64 s[4:5], s[4:5], s[8:9]
.LBB36_195:                             ;   in Loop: Header=BB36_196 Depth=1
	s_or_b64 exec, exec, s[6:7]
	v_add_u32_e32 v11, 1, v10
	v_cndmask_b32_e64 v8, v8, v10, s[4:5]
	v_cndmask_b32_e64 v27, v11, v27, s[4:5]
	v_cmp_ge_i32_e32 vcc, v27, v8
	s_or_b64 s[2:3], vcc, s[2:3]
	s_andn2_b64 exec, exec, s[2:3]
	s_cbranch_execz .LBB36_199
.LBB36_196:                             ; =>This Inner Loop Header: Depth=1
	v_sub_u32_e32 v10, v8, v27
	v_lshrrev_b32_e32 v11, 31, v10
	v_add_u32_e32 v10, v10, v11
	v_ashrrev_i32_e32 v10, 1, v10
	v_add_u32_e32 v10, v10, v27
	v_lshl_add_u32 v11, v10, 3, v24
	v_not_b32_e32 v12, v10
	v_lshl_add_u32 v12, v12, 3, v9
	ds_read_b32 v13, v11
	ds_read_b32 v14, v12
	s_or_b64 s[4:5], s[4:5], exec
	s_waitcnt lgkmcnt(0)
	v_cmp_nlt_f32_e32 vcc, v14, v13
	s_and_saveexec_b64 s[6:7], vcc
	s_cbranch_execz .LBB36_195
; %bb.197:                              ;   in Loop: Header=BB36_196 Depth=1
	v_cmp_eq_f32_e32 vcc, v14, v13
	s_mov_b64 s[8:9], 0
	s_and_saveexec_b64 s[10:11], vcc
	s_cbranch_execz .LBB36_194
; %bb.198:                              ;   in Loop: Header=BB36_196 Depth=1
	ds_read_b32 v12, v12 offset:4
	ds_read_b32 v11, v11 offset:4
	s_waitcnt lgkmcnt(0)
	v_cmp_lt_f32_e32 vcc, v12, v11
	s_and_b64 s[8:9], vcc, exec
	s_branch .LBB36_194
.LBB36_199:
	s_or_b64 exec, exec, s[2:3]
.LBB36_200:
	s_or_b64 exec, exec, s[0:1]
	v_sub_u32_e32 v12, v25, v27
	v_lshl_add_u32 v14, v27, 3, v24
	v_lshl_add_u32 v16, v12, 3, v24
	ds_read_b64 v[8:9], v14
	ds_read_b64 v[10:11], v16 offset:512
	v_add_u32_e32 v25, 64, v12
	s_movk_i32 s0, 0x80
	v_cmp_gt_i32_e32 vcc, s0, v25
	s_mov_b64 s[2:3], 0
	s_and_saveexec_b64 s[4:5], vcc
	s_cbranch_execz .LBB36_206
; %bb.201:
	v_cmp_gt_i32_e32 vcc, 64, v27
	s_waitcnt lgkmcnt(0)
	v_cmp_nlt_f32_e64 s[0:1], v10, v8
	s_and_b64 s[6:7], vcc, s[0:1]
	s_mov_b64 s[2:3], -1
	s_and_saveexec_b64 s[0:1], s[6:7]
	s_cbranch_execz .LBB36_205
; %bb.202:
	v_cmp_eq_f32_e32 vcc, v10, v8
	s_mov_b64 s[2:3], 0
	s_and_saveexec_b64 s[6:7], vcc
; %bb.203:
	v_cmp_lt_f32_e32 vcc, v11, v9
	s_and_b64 s[2:3], vcc, exec
; %bb.204:
	s_or_b64 exec, exec, s[6:7]
	s_orn2_b64 s[2:3], s[2:3], exec
.LBB36_205:
	s_or_b64 exec, exec, s[0:1]
	s_and_b64 s[2:3], s[2:3], exec
.LBB36_206:
	s_or_b64 exec, exec, s[4:5]
	s_xor_b64 s[0:1], s[2:3], -1
                                        ; implicit-def: $vgpr12_vgpr13
	s_and_saveexec_b64 s[4:5], s[0:1]
	s_xor_b64 s[0:1], exec, s[4:5]
	s_cbranch_execz .LBB36_208
; %bb.207:
	ds_read_b64 v[12:13], v14 offset:8
                                        ; implicit-def: $vgpr16
.LBB36_208:
	s_or_saveexec_b64 s[0:1], s[0:1]
	s_waitcnt lgkmcnt(0)
	v_pk_mov_b32 v[14:15], v[10:11], v[10:11] op_sel:[0,1]
	s_xor_b64 exec, exec, s[0:1]
	s_cbranch_execz .LBB36_210
; %bb.209:
	ds_read_b64 v[14:15], v16 offset:520
	v_pk_mov_b32 v[12:13], v[8:9], v[8:9] op_sel:[0,1]
.LBB36_210:
	s_or_b64 exec, exec, s[0:1]
	v_add_u32_e32 v16, 1, v25
	v_add_u32_e32 v17, 1, v27
	v_cndmask_b32_e64 v26, v25, v16, s[2:3]
	s_movk_i32 s0, 0x80
	v_cndmask_b32_e64 v29, v17, v27, s[2:3]
	v_cmp_gt_i32_e32 vcc, s0, v26
	s_mov_b64 s[4:5], 0
	s_and_saveexec_b64 s[6:7], vcc
	s_cbranch_execz .LBB36_216
; %bb.211:
	v_cmp_gt_i32_e32 vcc, 64, v29
	s_waitcnt lgkmcnt(0)
	v_cmp_nlt_f32_e64 s[0:1], v14, v12
	s_and_b64 s[8:9], vcc, s[0:1]
	s_mov_b64 s[4:5], -1
	s_and_saveexec_b64 s[0:1], s[8:9]
	s_cbranch_execz .LBB36_215
; %bb.212:
	v_cmp_eq_f32_e32 vcc, v14, v12
	s_mov_b64 s[4:5], 0
	s_and_saveexec_b64 s[8:9], vcc
; %bb.213:
	v_cmp_lt_f32_e32 vcc, v15, v13
	s_and_b64 s[4:5], vcc, exec
; %bb.214:
	s_or_b64 exec, exec, s[8:9]
	s_orn2_b64 s[4:5], s[4:5], exec
.LBB36_215:
	s_or_b64 exec, exec, s[0:1]
	s_and_b64 s[4:5], s[4:5], exec
.LBB36_216:
	s_or_b64 exec, exec, s[6:7]
	s_xor_b64 s[0:1], s[4:5], -1
                                        ; implicit-def: $vgpr16_vgpr17
	s_and_saveexec_b64 s[6:7], s[0:1]
	s_xor_b64 s[0:1], exec, s[6:7]
	s_cbranch_execz .LBB36_218
; %bb.217:
	v_lshl_add_u32 v16, v29, 3, v24
	ds_read_b64 v[16:17], v16 offset:8
.LBB36_218:
	s_or_saveexec_b64 s[0:1], s[0:1]
	s_waitcnt lgkmcnt(0)
	v_pk_mov_b32 v[18:19], v[14:15], v[14:15] op_sel:[0,1]
	s_xor_b64 exec, exec, s[0:1]
	s_cbranch_execz .LBB36_220
; %bb.219:
	v_lshl_add_u32 v16, v26, 3, v24
	ds_read_b64 v[18:19], v16 offset:8
	v_pk_mov_b32 v[16:17], v[12:13], v[12:13] op_sel:[0,1]
.LBB36_220:
	s_or_b64 exec, exec, s[0:1]
	v_add_u32_e32 v20, 1, v26
	v_add_u32_e32 v21, 1, v29
	v_cndmask_b32_e64 v30, v26, v20, s[4:5]
	s_movk_i32 s0, 0x80
	v_cndmask_b32_e64 v31, v21, v29, s[4:5]
	v_cmp_gt_i32_e32 vcc, s0, v30
	s_mov_b64 s[6:7], 0
	s_and_saveexec_b64 s[8:9], vcc
	s_cbranch_execz .LBB36_226
; %bb.221:
	v_cmp_gt_i32_e32 vcc, 64, v31
	s_waitcnt lgkmcnt(0)
	v_cmp_nlt_f32_e64 s[0:1], v18, v16
	s_and_b64 s[10:11], vcc, s[0:1]
	s_mov_b64 s[6:7], -1
	s_and_saveexec_b64 s[0:1], s[10:11]
	s_cbranch_execz .LBB36_225
; %bb.222:
	v_cmp_eq_f32_e32 vcc, v18, v16
	s_mov_b64 s[6:7], 0
	s_and_saveexec_b64 s[10:11], vcc
; %bb.223:
	v_cmp_lt_f32_e32 vcc, v19, v17
	s_and_b64 s[6:7], vcc, exec
; %bb.224:
	s_or_b64 exec, exec, s[10:11]
	s_orn2_b64 s[6:7], s[6:7], exec
.LBB36_225:
	s_or_b64 exec, exec, s[0:1]
	s_and_b64 s[6:7], s[6:7], exec
.LBB36_226:
	s_or_b64 exec, exec, s[8:9]
	s_xor_b64 s[0:1], s[6:7], -1
                                        ; implicit-def: $vgpr20_vgpr21
	s_and_saveexec_b64 s[8:9], s[0:1]
	s_xor_b64 s[0:1], exec, s[8:9]
	s_cbranch_execz .LBB36_228
; %bb.227:
	v_lshl_add_u32 v20, v31, 3, v24
	ds_read_b64 v[20:21], v20 offset:8
.LBB36_228:
	s_or_saveexec_b64 s[0:1], s[0:1]
	s_waitcnt lgkmcnt(0)
	v_pk_mov_b32 v[22:23], v[18:19], v[18:19] op_sel:[0,1]
	s_xor_b64 exec, exec, s[0:1]
	s_cbranch_execz .LBB36_230
; %bb.229:
	v_lshl_add_u32 v20, v30, 3, v24
	ds_read_b64 v[22:23], v20 offset:8
	v_pk_mov_b32 v[20:21], v[16:17], v[16:17] op_sel:[0,1]
.LBB36_230:
	s_or_b64 exec, exec, s[0:1]
	v_add_u32_e32 v32, 1, v30
	v_add_u32_e32 v33, 1, v31
	v_cndmask_b32_e64 v32, v30, v32, s[6:7]
	s_movk_i32 s0, 0x80
	v_cndmask_b32_e64 v33, v33, v31, s[6:7]
	v_cmp_gt_i32_e32 vcc, s0, v32
	s_mov_b64 s[0:1], 0
	s_and_saveexec_b64 s[8:9], vcc
	s_cbranch_execz .LBB36_236
; %bb.231:
	v_cmp_gt_i32_e32 vcc, 64, v33
	s_waitcnt lgkmcnt(0)
	v_cmp_nlt_f32_e64 s[0:1], v22, v20
	s_and_b64 s[12:13], vcc, s[0:1]
	s_mov_b64 s[10:11], -1
	s_and_saveexec_b64 s[0:1], s[12:13]
	s_cbranch_execz .LBB36_235
; %bb.232:
	v_cmp_eq_f32_e32 vcc, v22, v20
	s_mov_b64 s[10:11], 0
	s_and_saveexec_b64 s[12:13], vcc
; %bb.233:
	v_cmp_lt_f32_e32 vcc, v23, v21
	s_and_b64 s[10:11], vcc, exec
; %bb.234:
	s_or_b64 exec, exec, s[12:13]
	s_orn2_b64 s[10:11], s[10:11], exec
.LBB36_235:
	s_or_b64 exec, exec, s[0:1]
	s_and_b64 s[0:1], s[10:11], exec
.LBB36_236:
	s_or_b64 exec, exec, s[8:9]
	v_cndmask_b32_e64 v13, v13, v15, s[4:5]
	v_cndmask_b32_e64 v12, v12, v14, s[4:5]
	;; [unrolled: 1-line block ×8, first 2 shown]
	; wave barrier
	ds_write2_b64 v28, v[0:1], v[2:3] offset1:1
	v_lshl_add_u32 v0, v14, 2, v24
	v_lshl_add_u32 v1, v9, 2, v24
	;; [unrolled: 1-line block ×4, first 2 shown]
	; wave barrier
	ds_read_b32 v0, v0
	ds_read_b32 v1, v1
	;; [unrolled: 1-line block ×4, first 2 shown]
	v_cndmask_b32_e64 v17, v17, v19, s[6:7]
	v_cndmask_b32_e64 v16, v16, v18, s[6:7]
	s_waitcnt lgkmcnt(5)
	v_cndmask_b32_e64 v19, v21, v23, s[0:1]
	v_cndmask_b32_e64 v18, v20, v22, s[0:1]
	global_store_dwordx4 v[4:5], v[10:13], off
	global_store_dwordx4 v[4:5], v[16:19], off offset:16
	s_waitcnt lgkmcnt(0)
	global_store_dwordx4 v[6:7], v[0:3], off
	s_endpgm
	.section	.rodata,"a",@progbits
	.p2align	6, 0x0
	.amdhsa_kernel _Z21sort_keys_values_fullILj256ELj32ELj4ELb0EN10test_utils16custom_test_typeIfEEiNS0_4lessEEvPT3_PT4_T5_
		.amdhsa_group_segment_fixed_size 8256
		.amdhsa_private_segment_fixed_size 0
		.amdhsa_kernarg_size 20
		.amdhsa_user_sgpr_count 6
		.amdhsa_user_sgpr_private_segment_buffer 1
		.amdhsa_user_sgpr_dispatch_ptr 0
		.amdhsa_user_sgpr_queue_ptr 0
		.amdhsa_user_sgpr_kernarg_segment_ptr 1
		.amdhsa_user_sgpr_dispatch_id 0
		.amdhsa_user_sgpr_flat_scratch_init 0
		.amdhsa_user_sgpr_kernarg_preload_length 0
		.amdhsa_user_sgpr_kernarg_preload_offset 0
		.amdhsa_user_sgpr_private_segment_size 0
		.amdhsa_uses_dynamic_stack 0
		.amdhsa_system_sgpr_private_segment_wavefront_offset 0
		.amdhsa_system_sgpr_workgroup_id_x 1
		.amdhsa_system_sgpr_workgroup_id_y 0
		.amdhsa_system_sgpr_workgroup_id_z 0
		.amdhsa_system_sgpr_workgroup_info 0
		.amdhsa_system_vgpr_workitem_id 0
		.amdhsa_next_free_vgpr 39
		.amdhsa_next_free_sgpr 26
		.amdhsa_accum_offset 40
		.amdhsa_reserve_vcc 1
		.amdhsa_reserve_flat_scratch 0
		.amdhsa_float_round_mode_32 0
		.amdhsa_float_round_mode_16_64 0
		.amdhsa_float_denorm_mode_32 3
		.amdhsa_float_denorm_mode_16_64 3
		.amdhsa_dx10_clamp 1
		.amdhsa_ieee_mode 1
		.amdhsa_fp16_overflow 0
		.amdhsa_tg_split 0
		.amdhsa_exception_fp_ieee_invalid_op 0
		.amdhsa_exception_fp_denorm_src 0
		.amdhsa_exception_fp_ieee_div_zero 0
		.amdhsa_exception_fp_ieee_overflow 0
		.amdhsa_exception_fp_ieee_underflow 0
		.amdhsa_exception_fp_ieee_inexact 0
		.amdhsa_exception_int_div_zero 0
	.end_amdhsa_kernel
	.section	.text._Z21sort_keys_values_fullILj256ELj32ELj4ELb0EN10test_utils16custom_test_typeIfEEiNS0_4lessEEvPT3_PT4_T5_,"axG",@progbits,_Z21sort_keys_values_fullILj256ELj32ELj4ELb0EN10test_utils16custom_test_typeIfEEiNS0_4lessEEvPT3_PT4_T5_,comdat
.Lfunc_end36:
	.size	_Z21sort_keys_values_fullILj256ELj32ELj4ELb0EN10test_utils16custom_test_typeIfEEiNS0_4lessEEvPT3_PT4_T5_, .Lfunc_end36-_Z21sort_keys_values_fullILj256ELj32ELj4ELb0EN10test_utils16custom_test_typeIfEEiNS0_4lessEEvPT3_PT4_T5_
                                        ; -- End function
	.section	.AMDGPU.csdata,"",@progbits
; Kernel info:
; codeLenInByte = 6732
; NumSgprs: 30
; NumVgprs: 39
; NumAgprs: 0
; TotalNumVgprs: 39
; ScratchSize: 0
; MemoryBound: 0
; FloatMode: 240
; IeeeMode: 1
; LDSByteSize: 8256 bytes/workgroup (compile time only)
; SGPRBlocks: 3
; VGPRBlocks: 4
; NumSGPRsForWavesPerEU: 30
; NumVGPRsForWavesPerEU: 39
; AccumOffset: 40
; Occupancy: 7
; WaveLimiterHint : 0
; COMPUTE_PGM_RSRC2:SCRATCH_EN: 0
; COMPUTE_PGM_RSRC2:USER_SGPR: 6
; COMPUTE_PGM_RSRC2:TRAP_HANDLER: 0
; COMPUTE_PGM_RSRC2:TGID_X_EN: 1
; COMPUTE_PGM_RSRC2:TGID_Y_EN: 0
; COMPUTE_PGM_RSRC2:TGID_Z_EN: 0
; COMPUTE_PGM_RSRC2:TIDIG_COMP_CNT: 0
; COMPUTE_PGM_RSRC3_GFX90A:ACCUM_OFFSET: 9
; COMPUTE_PGM_RSRC3_GFX90A:TG_SPLIT: 0
	.section	.text._Z21sort_keys_values_fullILj256ELj32ELj2ELb0EN10test_utils16custom_test_typeIfEEyNS0_4lessEEvPT3_PT4_T5_,"axG",@progbits,_Z21sort_keys_values_fullILj256ELj32ELj2ELb0EN10test_utils16custom_test_typeIfEEyNS0_4lessEEvPT3_PT4_T5_,comdat
	.protected	_Z21sort_keys_values_fullILj256ELj32ELj2ELb0EN10test_utils16custom_test_typeIfEEyNS0_4lessEEvPT3_PT4_T5_ ; -- Begin function _Z21sort_keys_values_fullILj256ELj32ELj2ELb0EN10test_utils16custom_test_typeIfEEyNS0_4lessEEvPT3_PT4_T5_
	.globl	_Z21sort_keys_values_fullILj256ELj32ELj2ELb0EN10test_utils16custom_test_typeIfEEyNS0_4lessEEvPT3_PT4_T5_
	.p2align	8
	.type	_Z21sort_keys_values_fullILj256ELj32ELj2ELb0EN10test_utils16custom_test_typeIfEEyNS0_4lessEEvPT3_PT4_T5_,@function
_Z21sort_keys_values_fullILj256ELj32ELj2ELb0EN10test_utils16custom_test_typeIfEEyNS0_4lessEEvPT3_PT4_T5_: ; @_Z21sort_keys_values_fullILj256ELj32ELj2ELb0EN10test_utils16custom_test_typeIfEEyNS0_4lessEEvPT3_PT4_T5_
; %bb.0:
	s_load_dwordx4 s[0:3], s[4:5], 0x0
	s_lshl_b32 s4, s6, 9
	s_mov_b32 s5, 0
	s_lshl_b64 s[4:5], s[4:5], 3
	v_lshlrev_b32_e32 v6, 4, v0
	s_waitcnt lgkmcnt(0)
	s_add_u32 s0, s0, s4
	s_addc_u32 s1, s1, s5
	global_load_dwordx4 v[24:27], v6, s[0:1]
	s_add_u32 s2, s2, s4
	s_addc_u32 s3, s3, s5
	global_load_dwordx4 v[2:5], v6, s[2:3]
	v_mbcnt_lo_u32_b32 v1, -1, 0
	v_lshrrev_b32_e32 v8, 5, v0
	v_mbcnt_hi_u32_b32 v0, -1, v1
	v_lshlrev_b32_e32 v19, 1, v0
	v_and_b32_e32 v22, 60, v19
	v_and_b32_e32 v18, 62, v19
	v_or_b32_e32 v20, 2, v22
	v_add_u32_e32 v21, 4, v22
	s_movk_i32 s4, 0x208
	v_and_b32_e32 v12, 2, v19
	v_lshlrev_b32_e32 v0, 3, v18
	v_lshlrev_b32_e32 v1, 3, v22
	v_sub_u32_e32 v7, v21, v20
	v_mad_u32_u24 v16, v8, s4, v0
	v_sub_u32_e32 v0, v20, v22
	v_mad_u32_u24 v9, v8, s4, v1
	v_sub_u32_e32 v1, v12, v7
	v_cmp_ge_i32_e32 vcc, v12, v7
	v_min_i32_e32 v10, v12, v0
	v_cndmask_b32_e32 v23, 0, v1, vcc
	v_mov_b32_e32 v1, s1
	v_add_co_u32_e32 v0, vcc, s0, v6
	v_addc_co_u32_e32 v1, vcc, 0, v1, vcc
	v_mov_b32_e32 v7, s3
	v_add_co_u32_e32 v6, vcc, s2, v6
	v_addc_co_u32_e32 v7, vcc, 0, v7, vcc
	; wave barrier
	s_waitcnt vmcnt(1)
	v_cmp_neq_f32_e64 s[0:1], v26, v24
	v_cmp_nlt_f32_e64 s[2:3], v27, v25
	v_cmp_nlt_f32_e32 vcc, v26, v24
	s_or_b64 s[0:1], s[0:1], s[2:3]
	s_and_b64 vcc, vcc, s[0:1]
	v_cndmask_b32_e32 v15, v27, v25, vcc
	v_cndmask_b32_e32 v14, v26, v24, vcc
	v_cndmask_b32_e32 v25, v25, v27, vcc
	v_cndmask_b32_e32 v24, v24, v26, vcc
	v_cmp_lt_i32_e64 s[0:1], v23, v10
	ds_write2_b64 v16, v[14:15], v[24:25] offset1:1
	; wave barrier
	s_and_saveexec_b64 s[2:3], s[0:1]
	s_cbranch_execz .LBB37_8
; %bb.1:
	v_lshlrev_b32_e32 v11, 3, v12
	v_add3_u32 v11, v9, v11, 16
	s_mov_b64 s[4:5], 0
                                        ; implicit-def: $sgpr6_sgpr7
	s_branch .LBB37_4
.LBB37_2:                               ;   in Loop: Header=BB37_4 Depth=1
	s_or_b64 exec, exec, s[12:13]
	s_andn2_b64 s[0:1], s[6:7], exec
	s_and_b64 s[6:7], s[10:11], exec
	s_or_b64 s[6:7], s[0:1], s[6:7]
.LBB37_3:                               ;   in Loop: Header=BB37_4 Depth=1
	s_or_b64 exec, exec, s[8:9]
	v_add_u32_e32 v14, 1, v13
	v_cndmask_b32_e64 v10, v10, v13, s[6:7]
	v_cndmask_b32_e64 v23, v14, v23, s[6:7]
	v_cmp_ge_i32_e64 s[0:1], v23, v10
	s_or_b64 s[4:5], s[0:1], s[4:5]
	s_andn2_b64 exec, exec, s[4:5]
	s_cbranch_execz .LBB37_7
.LBB37_4:                               ; =>This Inner Loop Header: Depth=1
	v_sub_u32_e32 v13, v10, v23
	v_lshrrev_b32_e32 v14, 31, v13
	v_add_u32_e32 v13, v13, v14
	v_ashrrev_i32_e32 v13, 1, v13
	v_add_u32_e32 v13, v13, v23
	v_lshl_add_u32 v14, v13, 3, v9
	v_not_b32_e32 v15, v13
	v_lshl_add_u32 v15, v15, 3, v11
	ds_read_b32 v17, v14
	ds_read_b32 v24, v15
	s_or_b64 s[6:7], s[6:7], exec
	s_waitcnt lgkmcnt(0)
	v_cmp_nlt_f32_e64 s[0:1], v24, v17
	s_and_saveexec_b64 s[8:9], s[0:1]
	s_cbranch_execz .LBB37_3
; %bb.5:                                ;   in Loop: Header=BB37_4 Depth=1
	v_cmp_eq_f32_e64 s[0:1], v24, v17
	s_mov_b64 s[10:11], 0
	s_and_saveexec_b64 s[12:13], s[0:1]
	s_cbranch_execz .LBB37_2
; %bb.6:                                ;   in Loop: Header=BB37_4 Depth=1
	ds_read_b32 v15, v15 offset:4
	ds_read_b32 v14, v14 offset:4
	s_waitcnt lgkmcnt(0)
	v_cmp_lt_f32_e64 s[0:1], v15, v14
	s_and_b64 s[10:11], s[0:1], exec
	s_branch .LBB37_2
.LBB37_7:
	s_or_b64 exec, exec, s[4:5]
.LBB37_8:
	s_or_b64 exec, exec, s[2:3]
	v_mul_u32_u24_e32 v17, 0x208, v8
	v_add_u32_e32 v8, v22, v12
	v_lshl_add_u32 v14, v23, 3, v9
	v_sub_u32_e32 v8, v8, v23
	v_lshl_add_u32 v25, v8, 3, v17
	ds_read_b64 v[8:9], v14
	ds_read_b64 v[10:11], v25 offset:16
	v_add_u32_e32 v12, v20, v12
	v_sub_u32_e32 v24, v12, v23
	v_cmp_le_i32_e64 s[0:1], v21, v24
                                        ; implicit-def: $sgpr4_sgpr5
	s_and_saveexec_b64 s[2:3], s[0:1]
	s_xor_b64 s[0:1], exec, s[2:3]
; %bb.9:
	s_mov_b64 s[4:5], 0
; %bb.10:
	s_andn2_saveexec_b64 s[6:7], s[0:1]
	s_cbranch_execz .LBB37_16
; %bb.11:
	v_cmp_gt_i32_e64 s[0:1], 2, v23
	s_waitcnt lgkmcnt(0)
	v_cmp_nlt_f32_e64 s[2:3], v10, v8
	s_and_b64 s[8:9], s[0:1], s[2:3]
	s_mov_b64 s[0:1], -1
	s_and_saveexec_b64 s[2:3], s[8:9]
	s_cbranch_execz .LBB37_15
; %bb.12:
	v_cmp_eq_f32_e64 s[0:1], v10, v8
	s_mov_b64 s[8:9], 0
	s_and_saveexec_b64 s[10:11], s[0:1]
; %bb.13:
	v_cmp_lt_f32_e64 s[0:1], v11, v9
	s_and_b64 s[8:9], s[0:1], exec
; %bb.14:
	s_or_b64 exec, exec, s[10:11]
	s_orn2_b64 s[0:1], s[8:9], exec
.LBB37_15:
	s_or_b64 exec, exec, s[2:3]
	s_andn2_b64 s[2:3], s[4:5], exec
	s_and_b64 s[0:1], s[0:1], exec
	s_or_b64 s[4:5], s[2:3], s[0:1]
.LBB37_16:
	s_or_b64 exec, exec, s[6:7]
	s_xor_b64 s[0:1], s[4:5], -1
                                        ; implicit-def: $vgpr12_vgpr13
	s_and_saveexec_b64 s[2:3], s[0:1]
	s_xor_b64 s[0:1], exec, s[2:3]
	s_cbranch_execz .LBB37_18
; %bb.17:
	ds_read_b64 v[12:13], v14 offset:8
                                        ; implicit-def: $vgpr25
.LBB37_18:
	s_or_saveexec_b64 s[0:1], s[0:1]
	s_waitcnt lgkmcnt(0)
	v_pk_mov_b32 v[14:15], v[10:11], v[10:11] op_sel:[0,1]
	s_xor_b64 exec, exec, s[0:1]
	s_cbranch_execz .LBB37_20
; %bb.19:
	ds_read_b64 v[14:15], v25 offset:24
	v_pk_mov_b32 v[12:13], v[8:9], v[8:9] op_sel:[0,1]
.LBB37_20:
	s_or_b64 exec, exec, s[0:1]
	v_add_u32_e32 v25, v23, v22
	v_add_u32_e32 v22, 1, v24
	;; [unrolled: 1-line block ×3, first 2 shown]
	v_cndmask_b32_e64 v22, v24, v22, s[4:5]
	v_cndmask_b32_e64 v23, v23, v25, s[4:5]
	v_cmp_lt_i32_e64 s[0:1], v22, v21
	s_mov_b64 s[2:3], 0
	s_and_saveexec_b64 s[6:7], s[0:1]
	s_cbranch_execz .LBB37_26
; %bb.21:
	v_cmp_lt_i32_e64 s[0:1], v23, v20
	s_waitcnt lgkmcnt(0)
	v_cmp_nlt_f32_e64 s[2:3], v14, v12
	s_and_b64 s[8:9], s[0:1], s[2:3]
	s_mov_b64 s[0:1], -1
	s_and_saveexec_b64 s[2:3], s[8:9]
	s_cbranch_execz .LBB37_25
; %bb.22:
	v_cmp_eq_f32_e64 s[0:1], v14, v12
	s_mov_b64 s[8:9], 0
	s_and_saveexec_b64 s[10:11], s[0:1]
; %bb.23:
	v_cmp_lt_f32_e64 s[0:1], v15, v13
	s_and_b64 s[8:9], s[0:1], exec
; %bb.24:
	s_or_b64 exec, exec, s[10:11]
	s_orn2_b64 s[0:1], s[8:9], exec
.LBB37_25:
	s_or_b64 exec, exec, s[2:3]
	s_and_b64 s[2:3], s[0:1], exec
.LBB37_26:
	s_or_b64 exec, exec, s[6:7]
	v_cndmask_b32_e64 v8, v8, v10, s[4:5]
	v_cndmask_b32_e64 v9, v9, v11, s[4:5]
	;; [unrolled: 1-line block ×3, first 2 shown]
	s_waitcnt vmcnt(0)
	v_cndmask_b32_e32 v11, v3, v5, vcc
	v_cndmask_b32_e32 v10, v2, v4, vcc
	;; [unrolled: 1-line block ×4, first 2 shown]
	v_cndmask_b32_e64 v4, v23, v22, s[2:3]
	; wave barrier
	ds_write2_b64 v16, v[2:3], v[10:11] offset1:1
	v_lshl_add_u32 v2, v20, 3, v17
	v_lshl_add_u32 v4, v4, 3, v17
	v_and_b32_e32 v22, 56, v19
	s_waitcnt lgkmcnt(1)
	v_cndmask_b32_e64 v13, v13, v15, s[2:3]
	v_cndmask_b32_e64 v12, v12, v14, s[2:3]
	; wave barrier
	ds_read_b64 v[2:3], v2
	ds_read_b64 v[4:5], v4
	v_or_b32_e32 v20, 4, v22
	v_add_u32_e32 v21, 8, v22
	; wave barrier
	ds_write2_b64 v16, v[8:9], v[12:13] offset1:1
	v_and_b32_e32 v12, 6, v19
	v_sub_u32_e32 v10, v21, v20
	v_sub_u32_e32 v9, v20, v22
	;; [unrolled: 1-line block ×3, first 2 shown]
	v_cmp_ge_i32_e32 vcc, v12, v10
	v_cndmask_b32_e32 v23, 0, v11, vcc
	v_min_i32_e32 v9, v12, v9
	v_lshl_add_u32 v8, v22, 3, v17
	v_cmp_lt_i32_e32 vcc, v23, v9
	; wave barrier
	s_and_saveexec_b64 s[0:1], vcc
	s_cbranch_execz .LBB37_34
; %bb.27:
	v_lshlrev_b32_e32 v10, 3, v12
	v_add3_u32 v10, v8, v10, 32
	s_mov_b64 s[2:3], 0
                                        ; implicit-def: $sgpr4_sgpr5
	s_branch .LBB37_30
.LBB37_28:                              ;   in Loop: Header=BB37_30 Depth=1
	s_or_b64 exec, exec, s[10:11]
	s_andn2_b64 s[4:5], s[4:5], exec
	s_and_b64 s[8:9], s[8:9], exec
	s_or_b64 s[4:5], s[4:5], s[8:9]
.LBB37_29:                              ;   in Loop: Header=BB37_30 Depth=1
	s_or_b64 exec, exec, s[6:7]
	v_add_u32_e32 v13, 1, v11
	v_cndmask_b32_e64 v9, v9, v11, s[4:5]
	v_cndmask_b32_e64 v23, v13, v23, s[4:5]
	v_cmp_ge_i32_e32 vcc, v23, v9
	s_or_b64 s[2:3], vcc, s[2:3]
	s_andn2_b64 exec, exec, s[2:3]
	s_cbranch_execz .LBB37_33
.LBB37_30:                              ; =>This Inner Loop Header: Depth=1
	v_sub_u32_e32 v11, v9, v23
	v_lshrrev_b32_e32 v13, 31, v11
	v_add_u32_e32 v11, v11, v13
	v_ashrrev_i32_e32 v11, 1, v11
	v_add_u32_e32 v11, v11, v23
	v_lshl_add_u32 v13, v11, 3, v8
	v_not_b32_e32 v14, v11
	v_lshl_add_u32 v14, v14, 3, v10
	ds_read_b32 v15, v13
	ds_read_b32 v24, v14
	s_or_b64 s[4:5], s[4:5], exec
	s_waitcnt lgkmcnt(0)
	v_cmp_nlt_f32_e32 vcc, v24, v15
	s_and_saveexec_b64 s[6:7], vcc
	s_cbranch_execz .LBB37_29
; %bb.31:                               ;   in Loop: Header=BB37_30 Depth=1
	v_cmp_eq_f32_e32 vcc, v24, v15
	s_mov_b64 s[8:9], 0
	s_and_saveexec_b64 s[10:11], vcc
	s_cbranch_execz .LBB37_28
; %bb.32:                               ;   in Loop: Header=BB37_30 Depth=1
	ds_read_b32 v14, v14 offset:4
	ds_read_b32 v13, v13 offset:4
	s_waitcnt lgkmcnt(0)
	v_cmp_lt_f32_e32 vcc, v14, v13
	s_and_b64 s[8:9], vcc, exec
	s_branch .LBB37_28
.LBB37_33:
	s_or_b64 exec, exec, s[2:3]
.LBB37_34:
	s_or_b64 exec, exec, s[0:1]
	v_lshl_add_u32 v14, v23, 3, v8
	v_add_u32_e32 v8, v22, v12
	v_sub_u32_e32 v8, v8, v23
	v_lshl_add_u32 v25, v8, 3, v17
	ds_read_b64 v[8:9], v14
	ds_read_b64 v[10:11], v25 offset:32
	v_add_u32_e32 v12, v20, v12
	v_sub_u32_e32 v24, v12, v23
	v_cmp_le_i32_e32 vcc, v21, v24
                                        ; implicit-def: $sgpr2_sgpr3
	s_and_saveexec_b64 s[0:1], vcc
	s_xor_b64 s[0:1], exec, s[0:1]
; %bb.35:
	s_mov_b64 s[2:3], 0
; %bb.36:
	s_andn2_saveexec_b64 s[4:5], s[0:1]
	s_cbranch_execz .LBB37_42
; %bb.37:
	v_cmp_gt_i32_e32 vcc, 4, v23
	s_waitcnt lgkmcnt(0)
	v_cmp_nlt_f32_e64 s[0:1], v10, v8
	s_and_b64 s[8:9], vcc, s[0:1]
	s_mov_b64 s[6:7], -1
	s_and_saveexec_b64 s[0:1], s[8:9]
	s_cbranch_execz .LBB37_41
; %bb.38:
	v_cmp_eq_f32_e32 vcc, v10, v8
	s_mov_b64 s[6:7], 0
	s_and_saveexec_b64 s[8:9], vcc
; %bb.39:
	v_cmp_lt_f32_e32 vcc, v11, v9
	s_and_b64 s[6:7], vcc, exec
; %bb.40:
	s_or_b64 exec, exec, s[8:9]
	s_orn2_b64 s[6:7], s[6:7], exec
.LBB37_41:
	s_or_b64 exec, exec, s[0:1]
	s_andn2_b64 s[0:1], s[2:3], exec
	s_and_b64 s[2:3], s[6:7], exec
	s_or_b64 s[2:3], s[0:1], s[2:3]
.LBB37_42:
	s_or_b64 exec, exec, s[4:5]
	s_xor_b64 s[0:1], s[2:3], -1
                                        ; implicit-def: $vgpr12_vgpr13
	s_and_saveexec_b64 s[4:5], s[0:1]
	s_xor_b64 s[0:1], exec, s[4:5]
	s_cbranch_execz .LBB37_44
; %bb.43:
	ds_read_b64 v[12:13], v14 offset:8
                                        ; implicit-def: $vgpr25
.LBB37_44:
	s_or_saveexec_b64 s[0:1], s[0:1]
	s_waitcnt lgkmcnt(0)
	v_pk_mov_b32 v[14:15], v[10:11], v[10:11] op_sel:[0,1]
	s_xor_b64 exec, exec, s[0:1]
	s_cbranch_execz .LBB37_46
; %bb.45:
	ds_read_b64 v[14:15], v25 offset:40
	v_pk_mov_b32 v[12:13], v[8:9], v[8:9] op_sel:[0,1]
.LBB37_46:
	s_or_b64 exec, exec, s[0:1]
	v_add_u32_e32 v22, v23, v22
	v_add_u32_e32 v23, 1, v24
	;; [unrolled: 1-line block ×3, first 2 shown]
	v_cndmask_b32_e64 v23, v24, v23, s[2:3]
	v_cndmask_b32_e64 v25, v25, v22, s[2:3]
	v_cmp_lt_i32_e32 vcc, v23, v21
	s_mov_b64 s[0:1], 0
	s_and_saveexec_b64 s[4:5], vcc
	s_cbranch_execz .LBB37_52
; %bb.47:
	v_cmp_lt_i32_e32 vcc, v25, v20
	s_waitcnt lgkmcnt(0)
	v_cmp_nlt_f32_e64 s[0:1], v14, v12
	s_and_b64 s[8:9], vcc, s[0:1]
	s_mov_b64 s[6:7], -1
	s_and_saveexec_b64 s[0:1], s[8:9]
	s_cbranch_execz .LBB37_51
; %bb.48:
	v_cmp_eq_f32_e32 vcc, v14, v12
	s_mov_b64 s[6:7], 0
	s_and_saveexec_b64 s[8:9], vcc
; %bb.49:
	v_cmp_lt_f32_e32 vcc, v15, v13
	s_and_b64 s[6:7], vcc, exec
; %bb.50:
	s_or_b64 exec, exec, s[8:9]
	s_orn2_b64 s[6:7], s[6:7], exec
.LBB37_51:
	s_or_b64 exec, exec, s[0:1]
	s_and_b64 s[0:1], s[6:7], exec
.LBB37_52:
	s_or_b64 exec, exec, s[4:5]
	v_cndmask_b32_e64 v8, v8, v10, s[2:3]
	v_cndmask_b32_e64 v20, v22, v24, s[2:3]
	s_waitcnt lgkmcnt(0)
	v_cndmask_b32_e64 v10, v12, v14, s[0:1]
	v_cndmask_b32_e64 v12, v25, v23, s[0:1]
	; wave barrier
	ds_write2_b64 v16, v[2:3], v[4:5] offset1:1
	v_lshl_add_u32 v2, v20, 3, v17
	v_lshl_add_u32 v4, v12, 3, v17
	v_and_b32_e32 v22, 48, v19
	v_cndmask_b32_e64 v9, v9, v11, s[2:3]
	v_cndmask_b32_e64 v11, v13, v15, s[0:1]
	; wave barrier
	ds_read_b64 v[2:3], v2
	ds_read_b64 v[4:5], v4
	v_or_b32_e32 v20, 8, v22
	v_add_u32_e32 v21, 16, v22
	; wave barrier
	ds_write2_b64 v16, v[8:9], v[10:11] offset1:1
	v_and_b32_e32 v12, 14, v19
	v_sub_u32_e32 v10, v21, v20
	v_sub_u32_e32 v9, v20, v22
	;; [unrolled: 1-line block ×3, first 2 shown]
	v_cmp_ge_i32_e32 vcc, v12, v10
	v_cndmask_b32_e32 v23, 0, v11, vcc
	v_min_i32_e32 v9, v12, v9
	v_lshl_add_u32 v8, v22, 3, v17
	v_cmp_lt_i32_e32 vcc, v23, v9
	; wave barrier
	s_and_saveexec_b64 s[0:1], vcc
	s_cbranch_execz .LBB37_60
; %bb.53:
	v_lshlrev_b32_e32 v10, 3, v12
	v_add3_u32 v10, v8, v10, 64
	s_mov_b64 s[2:3], 0
                                        ; implicit-def: $sgpr4_sgpr5
	s_branch .LBB37_56
.LBB37_54:                              ;   in Loop: Header=BB37_56 Depth=1
	s_or_b64 exec, exec, s[10:11]
	s_andn2_b64 s[4:5], s[4:5], exec
	s_and_b64 s[8:9], s[8:9], exec
	s_or_b64 s[4:5], s[4:5], s[8:9]
.LBB37_55:                              ;   in Loop: Header=BB37_56 Depth=1
	s_or_b64 exec, exec, s[6:7]
	v_add_u32_e32 v13, 1, v11
	v_cndmask_b32_e64 v9, v9, v11, s[4:5]
	v_cndmask_b32_e64 v23, v13, v23, s[4:5]
	v_cmp_ge_i32_e32 vcc, v23, v9
	s_or_b64 s[2:3], vcc, s[2:3]
	s_andn2_b64 exec, exec, s[2:3]
	s_cbranch_execz .LBB37_59
.LBB37_56:                              ; =>This Inner Loop Header: Depth=1
	v_sub_u32_e32 v11, v9, v23
	v_lshrrev_b32_e32 v13, 31, v11
	v_add_u32_e32 v11, v11, v13
	v_ashrrev_i32_e32 v11, 1, v11
	v_add_u32_e32 v11, v11, v23
	v_lshl_add_u32 v13, v11, 3, v8
	v_not_b32_e32 v14, v11
	v_lshl_add_u32 v14, v14, 3, v10
	ds_read_b32 v15, v13
	ds_read_b32 v24, v14
	s_or_b64 s[4:5], s[4:5], exec
	s_waitcnt lgkmcnt(0)
	v_cmp_nlt_f32_e32 vcc, v24, v15
	s_and_saveexec_b64 s[6:7], vcc
	s_cbranch_execz .LBB37_55
; %bb.57:                               ;   in Loop: Header=BB37_56 Depth=1
	v_cmp_eq_f32_e32 vcc, v24, v15
	s_mov_b64 s[8:9], 0
	s_and_saveexec_b64 s[10:11], vcc
	s_cbranch_execz .LBB37_54
; %bb.58:                               ;   in Loop: Header=BB37_56 Depth=1
	ds_read_b32 v14, v14 offset:4
	ds_read_b32 v13, v13 offset:4
	s_waitcnt lgkmcnt(0)
	v_cmp_lt_f32_e32 vcc, v14, v13
	s_and_b64 s[8:9], vcc, exec
	s_branch .LBB37_54
.LBB37_59:
	s_or_b64 exec, exec, s[2:3]
.LBB37_60:
	s_or_b64 exec, exec, s[0:1]
	v_lshl_add_u32 v14, v23, 3, v8
	v_add_u32_e32 v8, v22, v12
	v_sub_u32_e32 v8, v8, v23
	v_lshl_add_u32 v25, v8, 3, v17
	ds_read_b64 v[8:9], v14
	ds_read_b64 v[10:11], v25 offset:64
	v_add_u32_e32 v12, v20, v12
	v_sub_u32_e32 v24, v12, v23
	v_cmp_le_i32_e32 vcc, v21, v24
                                        ; implicit-def: $sgpr2_sgpr3
	s_and_saveexec_b64 s[0:1], vcc
	s_xor_b64 s[0:1], exec, s[0:1]
; %bb.61:
	s_mov_b64 s[2:3], 0
; %bb.62:
	s_andn2_saveexec_b64 s[4:5], s[0:1]
	s_cbranch_execz .LBB37_68
; %bb.63:
	v_cmp_gt_i32_e32 vcc, 8, v23
	s_waitcnt lgkmcnt(0)
	v_cmp_nlt_f32_e64 s[0:1], v10, v8
	s_and_b64 s[8:9], vcc, s[0:1]
	s_mov_b64 s[6:7], -1
	s_and_saveexec_b64 s[0:1], s[8:9]
	s_cbranch_execz .LBB37_67
; %bb.64:
	v_cmp_eq_f32_e32 vcc, v10, v8
	s_mov_b64 s[6:7], 0
	s_and_saveexec_b64 s[8:9], vcc
; %bb.65:
	v_cmp_lt_f32_e32 vcc, v11, v9
	s_and_b64 s[6:7], vcc, exec
; %bb.66:
	s_or_b64 exec, exec, s[8:9]
	s_orn2_b64 s[6:7], s[6:7], exec
.LBB37_67:
	s_or_b64 exec, exec, s[0:1]
	s_andn2_b64 s[0:1], s[2:3], exec
	s_and_b64 s[2:3], s[6:7], exec
	s_or_b64 s[2:3], s[0:1], s[2:3]
.LBB37_68:
	s_or_b64 exec, exec, s[4:5]
	s_xor_b64 s[0:1], s[2:3], -1
                                        ; implicit-def: $vgpr12_vgpr13
	s_and_saveexec_b64 s[4:5], s[0:1]
	s_xor_b64 s[0:1], exec, s[4:5]
	s_cbranch_execz .LBB37_70
; %bb.69:
	ds_read_b64 v[12:13], v14 offset:8
                                        ; implicit-def: $vgpr25
.LBB37_70:
	s_or_saveexec_b64 s[0:1], s[0:1]
	s_waitcnt lgkmcnt(0)
	v_pk_mov_b32 v[14:15], v[10:11], v[10:11] op_sel:[0,1]
	s_xor_b64 exec, exec, s[0:1]
	s_cbranch_execz .LBB37_72
; %bb.71:
	ds_read_b64 v[14:15], v25 offset:72
	v_pk_mov_b32 v[12:13], v[8:9], v[8:9] op_sel:[0,1]
.LBB37_72:
	s_or_b64 exec, exec, s[0:1]
	v_add_u32_e32 v22, v23, v22
	v_add_u32_e32 v23, 1, v24
	;; [unrolled: 1-line block ×3, first 2 shown]
	v_cndmask_b32_e64 v23, v24, v23, s[2:3]
	v_cndmask_b32_e64 v25, v25, v22, s[2:3]
	v_cmp_lt_i32_e32 vcc, v23, v21
	s_mov_b64 s[0:1], 0
	s_and_saveexec_b64 s[4:5], vcc
	s_cbranch_execz .LBB37_78
; %bb.73:
	v_cmp_lt_i32_e32 vcc, v25, v20
	s_waitcnt lgkmcnt(0)
	v_cmp_nlt_f32_e64 s[0:1], v14, v12
	s_and_b64 s[8:9], vcc, s[0:1]
	s_mov_b64 s[6:7], -1
	s_and_saveexec_b64 s[0:1], s[8:9]
	s_cbranch_execz .LBB37_77
; %bb.74:
	v_cmp_eq_f32_e32 vcc, v14, v12
	s_mov_b64 s[6:7], 0
	s_and_saveexec_b64 s[8:9], vcc
; %bb.75:
	v_cmp_lt_f32_e32 vcc, v15, v13
	s_and_b64 s[6:7], vcc, exec
; %bb.76:
	s_or_b64 exec, exec, s[8:9]
	s_orn2_b64 s[6:7], s[6:7], exec
.LBB37_77:
	s_or_b64 exec, exec, s[0:1]
	s_and_b64 s[0:1], s[6:7], exec
.LBB37_78:
	s_or_b64 exec, exec, s[4:5]
	v_cndmask_b32_e64 v8, v8, v10, s[2:3]
	v_cndmask_b32_e64 v20, v22, v24, s[2:3]
	s_waitcnt lgkmcnt(0)
	v_cndmask_b32_e64 v10, v12, v14, s[0:1]
	v_cndmask_b32_e64 v12, v25, v23, s[0:1]
	; wave barrier
	ds_write2_b64 v16, v[2:3], v[4:5] offset1:1
	v_lshl_add_u32 v2, v20, 3, v17
	v_lshl_add_u32 v4, v12, 3, v17
	v_and_b32_e32 v21, 32, v19
	v_cndmask_b32_e64 v9, v9, v11, s[2:3]
	v_cndmask_b32_e64 v11, v13, v15, s[0:1]
	; wave barrier
	ds_read_b64 v[2:3], v2
	ds_read_b64 v[4:5], v4
	v_and_b32_e32 v12, 30, v19
	v_or_b32_e32 v19, 16, v21
	v_add_u32_e32 v20, 32, v21
	; wave barrier
	ds_write2_b64 v16, v[8:9], v[10:11] offset1:1
	v_sub_u32_e32 v10, v20, v19
	v_sub_u32_e32 v9, v19, v21
	;; [unrolled: 1-line block ×3, first 2 shown]
	v_cmp_ge_i32_e32 vcc, v12, v10
	v_cndmask_b32_e32 v22, 0, v11, vcc
	v_min_i32_e32 v9, v12, v9
	v_lshl_add_u32 v8, v21, 3, v17
	v_cmp_lt_i32_e32 vcc, v22, v9
	; wave barrier
	s_and_saveexec_b64 s[0:1], vcc
	s_cbranch_execz .LBB37_86
; %bb.79:
	v_lshlrev_b32_e32 v10, 3, v12
	s_movk_i32 s2, 0x80
	v_add3_u32 v10, v8, v10, s2
	s_mov_b64 s[2:3], 0
                                        ; implicit-def: $sgpr4_sgpr5
	s_branch .LBB37_82
.LBB37_80:                              ;   in Loop: Header=BB37_82 Depth=1
	s_or_b64 exec, exec, s[10:11]
	s_andn2_b64 s[4:5], s[4:5], exec
	s_and_b64 s[8:9], s[8:9], exec
	s_or_b64 s[4:5], s[4:5], s[8:9]
.LBB37_81:                              ;   in Loop: Header=BB37_82 Depth=1
	s_or_b64 exec, exec, s[6:7]
	v_add_u32_e32 v13, 1, v11
	v_cndmask_b32_e64 v9, v9, v11, s[4:5]
	v_cndmask_b32_e64 v22, v13, v22, s[4:5]
	v_cmp_ge_i32_e32 vcc, v22, v9
	s_or_b64 s[2:3], vcc, s[2:3]
	s_andn2_b64 exec, exec, s[2:3]
	s_cbranch_execz .LBB37_85
.LBB37_82:                              ; =>This Inner Loop Header: Depth=1
	v_sub_u32_e32 v11, v9, v22
	v_lshrrev_b32_e32 v13, 31, v11
	v_add_u32_e32 v11, v11, v13
	v_ashrrev_i32_e32 v11, 1, v11
	v_add_u32_e32 v11, v11, v22
	v_lshl_add_u32 v13, v11, 3, v8
	v_not_b32_e32 v14, v11
	v_lshl_add_u32 v14, v14, 3, v10
	ds_read_b32 v15, v13
	ds_read_b32 v23, v14
	s_or_b64 s[4:5], s[4:5], exec
	s_waitcnt lgkmcnt(0)
	v_cmp_nlt_f32_e32 vcc, v23, v15
	s_and_saveexec_b64 s[6:7], vcc
	s_cbranch_execz .LBB37_81
; %bb.83:                               ;   in Loop: Header=BB37_82 Depth=1
	v_cmp_eq_f32_e32 vcc, v23, v15
	s_mov_b64 s[8:9], 0
	s_and_saveexec_b64 s[10:11], vcc
	s_cbranch_execz .LBB37_80
; %bb.84:                               ;   in Loop: Header=BB37_82 Depth=1
	ds_read_b32 v14, v14 offset:4
	ds_read_b32 v13, v13 offset:4
	s_waitcnt lgkmcnt(0)
	v_cmp_lt_f32_e32 vcc, v14, v13
	s_and_b64 s[8:9], vcc, exec
	s_branch .LBB37_80
.LBB37_85:
	s_or_b64 exec, exec, s[2:3]
.LBB37_86:
	s_or_b64 exec, exec, s[0:1]
	v_lshl_add_u32 v14, v22, 3, v8
	v_add_u32_e32 v8, v21, v12
	v_sub_u32_e32 v8, v8, v22
	v_lshl_add_u32 v24, v8, 3, v17
	ds_read_b64 v[8:9], v14
	ds_read_b64 v[10:11], v24 offset:128
	v_add_u32_e32 v12, v19, v12
	v_sub_u32_e32 v23, v12, v22
	v_cmp_le_i32_e32 vcc, v20, v23
                                        ; implicit-def: $sgpr2_sgpr3
	s_and_saveexec_b64 s[0:1], vcc
	s_xor_b64 s[0:1], exec, s[0:1]
; %bb.87:
	s_mov_b64 s[2:3], 0
; %bb.88:
	s_andn2_saveexec_b64 s[4:5], s[0:1]
	s_cbranch_execz .LBB37_94
; %bb.89:
	v_cmp_gt_i32_e32 vcc, 16, v22
	s_waitcnt lgkmcnt(0)
	v_cmp_nlt_f32_e64 s[0:1], v10, v8
	s_and_b64 s[8:9], vcc, s[0:1]
	s_mov_b64 s[6:7], -1
	s_and_saveexec_b64 s[0:1], s[8:9]
	s_cbranch_execz .LBB37_93
; %bb.90:
	v_cmp_eq_f32_e32 vcc, v10, v8
	s_mov_b64 s[6:7], 0
	s_and_saveexec_b64 s[8:9], vcc
; %bb.91:
	v_cmp_lt_f32_e32 vcc, v11, v9
	s_and_b64 s[6:7], vcc, exec
; %bb.92:
	s_or_b64 exec, exec, s[8:9]
	s_orn2_b64 s[6:7], s[6:7], exec
.LBB37_93:
	s_or_b64 exec, exec, s[0:1]
	s_andn2_b64 s[0:1], s[2:3], exec
	s_and_b64 s[2:3], s[6:7], exec
	s_or_b64 s[2:3], s[0:1], s[2:3]
.LBB37_94:
	s_or_b64 exec, exec, s[4:5]
	s_xor_b64 s[0:1], s[2:3], -1
                                        ; implicit-def: $vgpr12_vgpr13
	s_and_saveexec_b64 s[4:5], s[0:1]
	s_xor_b64 s[0:1], exec, s[4:5]
	s_cbranch_execz .LBB37_96
; %bb.95:
	ds_read_b64 v[12:13], v14 offset:8
                                        ; implicit-def: $vgpr24
.LBB37_96:
	s_or_saveexec_b64 s[0:1], s[0:1]
	s_waitcnt lgkmcnt(0)
	v_pk_mov_b32 v[14:15], v[10:11], v[10:11] op_sel:[0,1]
	s_xor_b64 exec, exec, s[0:1]
	s_cbranch_execz .LBB37_98
; %bb.97:
	ds_read_b64 v[14:15], v24 offset:136
	v_pk_mov_b32 v[12:13], v[8:9], v[8:9] op_sel:[0,1]
.LBB37_98:
	s_or_b64 exec, exec, s[0:1]
	v_add_u32_e32 v21, v22, v21
	v_add_u32_e32 v22, 1, v23
	;; [unrolled: 1-line block ×3, first 2 shown]
	v_cndmask_b32_e64 v22, v23, v22, s[2:3]
	v_cndmask_b32_e64 v24, v24, v21, s[2:3]
	v_cmp_lt_i32_e32 vcc, v22, v20
	s_mov_b64 s[0:1], 0
	s_and_saveexec_b64 s[4:5], vcc
	s_cbranch_execz .LBB37_104
; %bb.99:
	v_cmp_lt_i32_e32 vcc, v24, v19
	s_waitcnt lgkmcnt(0)
	v_cmp_nlt_f32_e64 s[0:1], v14, v12
	s_and_b64 s[8:9], vcc, s[0:1]
	s_mov_b64 s[6:7], -1
	s_and_saveexec_b64 s[0:1], s[8:9]
	s_cbranch_execz .LBB37_103
; %bb.100:
	v_cmp_eq_f32_e32 vcc, v14, v12
	s_mov_b64 s[6:7], 0
	s_and_saveexec_b64 s[8:9], vcc
; %bb.101:
	v_cmp_lt_f32_e32 vcc, v15, v13
	s_and_b64 s[6:7], vcc, exec
; %bb.102:
	s_or_b64 exec, exec, s[8:9]
	s_orn2_b64 s[6:7], s[6:7], exec
.LBB37_103:
	s_or_b64 exec, exec, s[0:1]
	s_and_b64 s[0:1], s[6:7], exec
.LBB37_104:
	s_or_b64 exec, exec, s[4:5]
	v_cndmask_b32_e64 v8, v8, v10, s[2:3]
	v_cndmask_b32_e64 v19, v21, v23, s[2:3]
	s_waitcnt lgkmcnt(0)
	v_cndmask_b32_e64 v10, v12, v14, s[0:1]
	v_cndmask_b32_e64 v12, v24, v22, s[0:1]
	; wave barrier
	ds_write2_b64 v16, v[2:3], v[4:5] offset1:1
	v_lshl_add_u32 v2, v19, 3, v17
	v_lshl_add_u32 v4, v12, 3, v17
	; wave barrier
	ds_read_b64 v[2:3], v2
	ds_read_b64 v[4:5], v4
	v_cndmask_b32_e64 v9, v9, v11, s[2:3]
	v_cndmask_b32_e64 v11, v13, v15, s[0:1]
	; wave barrier
	ds_write2_b64 v16, v[8:9], v[10:11] offset1:1
	v_sub_u32_e64 v19, v18, 32 clamp
	v_min_i32_e32 v8, 32, v18
	v_cmp_lt_u32_e32 vcc, v19, v8
	; wave barrier
	s_and_saveexec_b64 s[0:1], vcc
	s_cbranch_execz .LBB37_112
; %bb.105:
	v_add_u32_e32 v9, 0x100, v16
	s_mov_b64 s[2:3], 0
                                        ; implicit-def: $sgpr4_sgpr5
	s_branch .LBB37_108
.LBB37_106:                             ;   in Loop: Header=BB37_108 Depth=1
	s_or_b64 exec, exec, s[10:11]
	s_andn2_b64 s[4:5], s[4:5], exec
	s_and_b64 s[8:9], s[8:9], exec
	s_or_b64 s[4:5], s[4:5], s[8:9]
.LBB37_107:                             ;   in Loop: Header=BB37_108 Depth=1
	s_or_b64 exec, exec, s[6:7]
	v_add_u32_e32 v11, 1, v10
	v_cndmask_b32_e64 v8, v8, v10, s[4:5]
	v_cndmask_b32_e64 v19, v11, v19, s[4:5]
	v_cmp_ge_i32_e32 vcc, v19, v8
	s_or_b64 s[2:3], vcc, s[2:3]
	s_andn2_b64 exec, exec, s[2:3]
	s_cbranch_execz .LBB37_111
.LBB37_108:                             ; =>This Inner Loop Header: Depth=1
	v_sub_u32_e32 v10, v8, v19
	v_lshrrev_b32_e32 v11, 31, v10
	v_add_u32_e32 v10, v10, v11
	v_ashrrev_i32_e32 v10, 1, v10
	v_add_u32_e32 v10, v10, v19
	v_lshl_add_u32 v11, v10, 3, v17
	v_not_b32_e32 v12, v10
	v_lshl_add_u32 v12, v12, 3, v9
	ds_read_b32 v13, v11
	ds_read_b32 v14, v12
	s_or_b64 s[4:5], s[4:5], exec
	s_waitcnt lgkmcnt(0)
	v_cmp_nlt_f32_e32 vcc, v14, v13
	s_and_saveexec_b64 s[6:7], vcc
	s_cbranch_execz .LBB37_107
; %bb.109:                              ;   in Loop: Header=BB37_108 Depth=1
	v_cmp_eq_f32_e32 vcc, v14, v13
	s_mov_b64 s[8:9], 0
	s_and_saveexec_b64 s[10:11], vcc
	s_cbranch_execz .LBB37_106
; %bb.110:                              ;   in Loop: Header=BB37_108 Depth=1
	ds_read_b32 v12, v12 offset:4
	ds_read_b32 v11, v11 offset:4
	s_waitcnt lgkmcnt(0)
	v_cmp_lt_f32_e32 vcc, v12, v11
	s_and_b64 s[8:9], vcc, exec
	s_branch .LBB37_106
.LBB37_111:
	s_or_b64 exec, exec, s[2:3]
.LBB37_112:
	s_or_b64 exec, exec, s[0:1]
	v_sub_u32_e32 v12, v18, v19
	v_lshl_add_u32 v14, v19, 3, v17
	v_lshl_add_u32 v20, v12, 3, v17
	ds_read_b64 v[8:9], v14
	ds_read_b64 v[10:11], v20 offset:256
	v_add_u32_e32 v18, 32, v12
	v_cmp_gt_i32_e32 vcc, 64, v18
	s_mov_b64 s[2:3], 0
	s_and_saveexec_b64 s[4:5], vcc
	s_cbranch_execz .LBB37_118
; %bb.113:
	v_cmp_gt_i32_e32 vcc, 32, v19
	s_waitcnt lgkmcnt(0)
	v_cmp_nlt_f32_e64 s[0:1], v10, v8
	s_and_b64 s[6:7], vcc, s[0:1]
	s_mov_b64 s[2:3], -1
	s_and_saveexec_b64 s[0:1], s[6:7]
	s_cbranch_execz .LBB37_117
; %bb.114:
	v_cmp_eq_f32_e32 vcc, v10, v8
	s_mov_b64 s[2:3], 0
	s_and_saveexec_b64 s[6:7], vcc
; %bb.115:
	v_cmp_lt_f32_e32 vcc, v11, v9
	s_and_b64 s[2:3], vcc, exec
; %bb.116:
	s_or_b64 exec, exec, s[6:7]
	s_orn2_b64 s[2:3], s[2:3], exec
.LBB37_117:
	s_or_b64 exec, exec, s[0:1]
	s_and_b64 s[2:3], s[2:3], exec
.LBB37_118:
	s_or_b64 exec, exec, s[4:5]
	s_xor_b64 s[0:1], s[2:3], -1
                                        ; implicit-def: $vgpr12_vgpr13
	s_and_saveexec_b64 s[4:5], s[0:1]
	s_xor_b64 s[0:1], exec, s[4:5]
	s_cbranch_execz .LBB37_120
; %bb.119:
	ds_read_b64 v[12:13], v14 offset:8
                                        ; implicit-def: $vgpr20
.LBB37_120:
	s_or_saveexec_b64 s[0:1], s[0:1]
	s_waitcnt lgkmcnt(0)
	v_pk_mov_b32 v[14:15], v[10:11], v[10:11] op_sel:[0,1]
	s_xor_b64 exec, exec, s[0:1]
	s_cbranch_execz .LBB37_122
; %bb.121:
	ds_read_b64 v[14:15], v20 offset:264
	v_pk_mov_b32 v[12:13], v[8:9], v[8:9] op_sel:[0,1]
.LBB37_122:
	s_or_b64 exec, exec, s[0:1]
	v_add_u32_e32 v20, 1, v18
	v_add_u32_e32 v21, 1, v19
	v_cndmask_b32_e64 v20, v18, v20, s[2:3]
	v_cndmask_b32_e64 v21, v21, v19, s[2:3]
	v_cmp_gt_i32_e32 vcc, 64, v20
	s_mov_b64 s[0:1], 0
	s_and_saveexec_b64 s[4:5], vcc
	s_cbranch_execz .LBB37_128
; %bb.123:
	v_cmp_gt_i32_e32 vcc, 32, v21
	s_waitcnt lgkmcnt(0)
	v_cmp_nlt_f32_e64 s[0:1], v14, v12
	s_and_b64 s[8:9], vcc, s[0:1]
	s_mov_b64 s[6:7], -1
	s_and_saveexec_b64 s[0:1], s[8:9]
	s_cbranch_execz .LBB37_127
; %bb.124:
	v_cmp_eq_f32_e32 vcc, v14, v12
	s_mov_b64 s[6:7], 0
	s_and_saveexec_b64 s[8:9], vcc
; %bb.125:
	v_cmp_lt_f32_e32 vcc, v15, v13
	s_and_b64 s[6:7], vcc, exec
; %bb.126:
	s_or_b64 exec, exec, s[8:9]
	s_orn2_b64 s[6:7], s[6:7], exec
.LBB37_127:
	s_or_b64 exec, exec, s[0:1]
	s_and_b64 s[0:1], s[6:7], exec
.LBB37_128:
	s_or_b64 exec, exec, s[4:5]
	v_cndmask_b32_e64 v9, v9, v11, s[2:3]
	v_cndmask_b32_e64 v11, v19, v18, s[2:3]
	;; [unrolled: 1-line block ×3, first 2 shown]
	; wave barrier
	ds_write2_b64 v16, v[2:3], v[4:5] offset1:1
	v_lshl_add_u32 v2, v11, 3, v17
	v_lshl_add_u32 v4, v18, 3, v17
	; wave barrier
	ds_read_b64 v[2:3], v2
	ds_read_b64 v[4:5], v4
	v_cndmask_b32_e64 v8, v8, v10, s[2:3]
	s_waitcnt lgkmcnt(3)
	v_cndmask_b32_e64 v11, v13, v15, s[0:1]
	v_cndmask_b32_e64 v10, v12, v14, s[0:1]
	global_store_dwordx4 v[0:1], v[8:11], off
	s_waitcnt lgkmcnt(0)
	global_store_dwordx4 v[6:7], v[2:5], off
	s_endpgm
	.section	.rodata,"a",@progbits
	.p2align	6, 0x0
	.amdhsa_kernel _Z21sort_keys_values_fullILj256ELj32ELj2ELb0EN10test_utils16custom_test_typeIfEEyNS0_4lessEEvPT3_PT4_T5_
		.amdhsa_group_segment_fixed_size 4160
		.amdhsa_private_segment_fixed_size 0
		.amdhsa_kernarg_size 20
		.amdhsa_user_sgpr_count 6
		.amdhsa_user_sgpr_private_segment_buffer 1
		.amdhsa_user_sgpr_dispatch_ptr 0
		.amdhsa_user_sgpr_queue_ptr 0
		.amdhsa_user_sgpr_kernarg_segment_ptr 1
		.amdhsa_user_sgpr_dispatch_id 0
		.amdhsa_user_sgpr_flat_scratch_init 0
		.amdhsa_user_sgpr_kernarg_preload_length 0
		.amdhsa_user_sgpr_kernarg_preload_offset 0
		.amdhsa_user_sgpr_private_segment_size 0
		.amdhsa_uses_dynamic_stack 0
		.amdhsa_system_sgpr_private_segment_wavefront_offset 0
		.amdhsa_system_sgpr_workgroup_id_x 1
		.amdhsa_system_sgpr_workgroup_id_y 0
		.amdhsa_system_sgpr_workgroup_id_z 0
		.amdhsa_system_sgpr_workgroup_info 0
		.amdhsa_system_vgpr_workitem_id 0
		.amdhsa_next_free_vgpr 28
		.amdhsa_next_free_sgpr 14
		.amdhsa_accum_offset 28
		.amdhsa_reserve_vcc 1
		.amdhsa_reserve_flat_scratch 0
		.amdhsa_float_round_mode_32 0
		.amdhsa_float_round_mode_16_64 0
		.amdhsa_float_denorm_mode_32 3
		.amdhsa_float_denorm_mode_16_64 3
		.amdhsa_dx10_clamp 1
		.amdhsa_ieee_mode 1
		.amdhsa_fp16_overflow 0
		.amdhsa_tg_split 0
		.amdhsa_exception_fp_ieee_invalid_op 0
		.amdhsa_exception_fp_denorm_src 0
		.amdhsa_exception_fp_ieee_div_zero 0
		.amdhsa_exception_fp_ieee_overflow 0
		.amdhsa_exception_fp_ieee_underflow 0
		.amdhsa_exception_fp_ieee_inexact 0
		.amdhsa_exception_int_div_zero 0
	.end_amdhsa_kernel
	.section	.text._Z21sort_keys_values_fullILj256ELj32ELj2ELb0EN10test_utils16custom_test_typeIfEEyNS0_4lessEEvPT3_PT4_T5_,"axG",@progbits,_Z21sort_keys_values_fullILj256ELj32ELj2ELb0EN10test_utils16custom_test_typeIfEEyNS0_4lessEEvPT3_PT4_T5_,comdat
.Lfunc_end37:
	.size	_Z21sort_keys_values_fullILj256ELj32ELj2ELb0EN10test_utils16custom_test_typeIfEEyNS0_4lessEEvPT3_PT4_T5_, .Lfunc_end37-_Z21sort_keys_values_fullILj256ELj32ELj2ELb0EN10test_utils16custom_test_typeIfEEyNS0_4lessEEvPT3_PT4_T5_
                                        ; -- End function
	.section	.AMDGPU.csdata,"",@progbits
; Kernel info:
; codeLenInByte = 3740
; NumSgprs: 18
; NumVgprs: 28
; NumAgprs: 0
; TotalNumVgprs: 28
; ScratchSize: 0
; MemoryBound: 0
; FloatMode: 240
; IeeeMode: 1
; LDSByteSize: 4160 bytes/workgroup (compile time only)
; SGPRBlocks: 2
; VGPRBlocks: 3
; NumSGPRsForWavesPerEU: 18
; NumVGPRsForWavesPerEU: 28
; AccumOffset: 28
; Occupancy: 8
; WaveLimiterHint : 0
; COMPUTE_PGM_RSRC2:SCRATCH_EN: 0
; COMPUTE_PGM_RSRC2:USER_SGPR: 6
; COMPUTE_PGM_RSRC2:TRAP_HANDLER: 0
; COMPUTE_PGM_RSRC2:TGID_X_EN: 1
; COMPUTE_PGM_RSRC2:TGID_Y_EN: 0
; COMPUTE_PGM_RSRC2:TGID_Z_EN: 0
; COMPUTE_PGM_RSRC2:TIDIG_COMP_CNT: 0
; COMPUTE_PGM_RSRC3_GFX90A:ACCUM_OFFSET: 6
; COMPUTE_PGM_RSRC3_GFX90A:TG_SPLIT: 0
	.section	.text._Z21sort_keys_values_fullILj32ELj32ELj1ELb0E12hip_bfloat16iN10test_utils4lessEEvPT3_PT4_T5_,"axG",@progbits,_Z21sort_keys_values_fullILj32ELj32ELj1ELb0E12hip_bfloat16iN10test_utils4lessEEvPT3_PT4_T5_,comdat
	.protected	_Z21sort_keys_values_fullILj32ELj32ELj1ELb0E12hip_bfloat16iN10test_utils4lessEEvPT3_PT4_T5_ ; -- Begin function _Z21sort_keys_values_fullILj32ELj32ELj1ELb0E12hip_bfloat16iN10test_utils4lessEEvPT3_PT4_T5_
	.globl	_Z21sort_keys_values_fullILj32ELj32ELj1ELb0E12hip_bfloat16iN10test_utils4lessEEvPT3_PT4_T5_
	.p2align	8
	.type	_Z21sort_keys_values_fullILj32ELj32ELj1ELb0E12hip_bfloat16iN10test_utils4lessEEvPT3_PT4_T5_,@function
_Z21sort_keys_values_fullILj32ELj32ELj1ELb0E12hip_bfloat16iN10test_utils4lessEEvPT3_PT4_T5_: ; @_Z21sort_keys_values_fullILj32ELj32ELj1ELb0E12hip_bfloat16iN10test_utils4lessEEvPT3_PT4_T5_
; %bb.0:
	s_load_dwordx4 s[0:3], s[4:5], 0x0
	s_lshl_b32 s4, s6, 5
	s_mov_b32 s5, 0
	s_lshl_b64 s[6:7], s[4:5], 1
	v_lshlrev_b32_e32 v1, 1, v0
	s_waitcnt lgkmcnt(0)
	s_add_u32 s0, s0, s6
	s_addc_u32 s1, s1, s7
	s_lshl_b64 s[4:5], s[4:5], 2
	global_load_ushort v13, v1, s[0:1]
	s_add_u32 s2, s2, s4
	s_addc_u32 s3, s3, s5
	v_lshlrev_b32_e32 v2, 2, v0
	global_load_dword v8, v2, s[2:3]
	v_mbcnt_lo_u32_b32 v0, -1, 0
	v_mbcnt_hi_u32_b32 v7, -1, v0
	v_and_b32_e32 v9, 30, v7
	v_or_b32_e32 v6, 1, v9
	v_sub_u32_e32 v0, v9, v6
	v_and_b32_e32 v10, 1, v7
	v_add_u32_e32 v0, 2, v0
	v_sub_u32_e32 v3, v10, v0
	v_cmp_ge_i32_e32 vcc, v10, v0
	v_cndmask_b32_e32 v11, 0, v3, vcc
	v_mov_b32_e32 v3, s1
	v_add_co_u32_e32 v0, vcc, s0, v1
	v_and_b32_e32 v4, 31, v7
	v_addc_co_u32_e32 v1, vcc, 0, v3, vcc
	v_lshlrev_b32_e32 v5, 1, v4
	v_sub_u32_e32 v14, v6, v9
	v_mov_b32_e32 v3, s3
	v_add_co_u32_e32 v2, vcc, s2, v2
	; wave barrier
	v_addc_co_u32_e32 v3, vcc, 0, v3, vcc
	v_lshlrev_b32_e32 v12, 1, v9
	s_waitcnt vmcnt(1)
	ds_write_b16 v5, v13
	v_min_i32_e32 v13, v10, v14
	v_cmp_lt_i32_e32 vcc, v11, v13
	; wave barrier
	s_and_saveexec_b64 s[0:1], vcc
	s_cbranch_execz .LBB38_4
; %bb.1:
	v_lshlrev_b32_e32 v14, 1, v10
	v_add3_u32 v14, v12, v14, 2
	s_mov_b64 s[2:3], 0
.LBB38_2:                               ; =>This Inner Loop Header: Depth=1
	v_sub_u32_e32 v15, v13, v11
	v_lshrrev_b32_e32 v16, 31, v15
	v_add_u32_e32 v15, v15, v16
	v_ashrrev_i32_e32 v15, 1, v15
	v_add_u32_e32 v15, v15, v11
	v_not_b32_e32 v17, v15
	v_lshl_add_u32 v16, v15, 1, v12
	v_lshl_add_u32 v17, v17, 1, v14
	ds_read_u16 v16, v16
	ds_read_u16 v17, v17
	v_add_u32_e32 v18, 1, v15
	s_waitcnt lgkmcnt(1)
	v_lshlrev_b32_e32 v16, 16, v16
	s_waitcnt lgkmcnt(0)
	v_lshlrev_b32_e32 v17, 16, v17
	v_cmp_lt_f32_e32 vcc, v17, v16
	v_cndmask_b32_e32 v13, v13, v15, vcc
	v_cndmask_b32_e32 v11, v18, v11, vcc
	v_cmp_ge_i32_e32 vcc, v11, v13
	s_or_b64 s[2:3], vcc, s[2:3]
	s_andn2_b64 exec, exec, s[2:3]
	s_cbranch_execnz .LBB38_2
; %bb.3:
	s_or_b64 exec, exec, s[2:3]
.LBB38_4:
	s_or_b64 exec, exec, s[0:1]
	v_add_u32_e32 v13, v11, v9
	v_add_u32_e32 v9, v9, v10
	v_sub_u32_e32 v9, v9, v11
	v_lshl_add_u32 v12, v11, 1, v12
	v_lshlrev_b32_e32 v9, 1, v9
	v_add_u32_e32 v14, v6, v10
	ds_read_u16 v10, v12
	ds_read_u16 v9, v9 offset:2
	v_sub_u32_e32 v12, v14, v11
	v_cmp_ge_i32_e32 vcc, v6, v12
	v_cmp_lt_i32_e64 s[0:1], 0, v11
	s_waitcnt lgkmcnt(1)
	v_lshlrev_b32_e32 v6, 16, v10
	s_waitcnt lgkmcnt(0)
	v_lshlrev_b32_e32 v11, 16, v9
	v_cmp_lt_f32_e64 s[2:3], v11, v6
	s_or_b64 s[0:1], s[0:1], s[2:3]
	s_and_b64 vcc, vcc, s[0:1]
	v_cndmask_b32_e32 v9, v10, v9, vcc
	v_cndmask_b32_e32 v10, v13, v12, vcc
	v_add_u32_e32 v6, v5, v5
	; wave barrier
	s_waitcnt vmcnt(0)
	ds_write_b32 v6, v8
	v_lshlrev_b32_e32 v8, 2, v10
	v_and_b32_e32 v10, 28, v7
	; wave barrier
	ds_read_b32 v8, v8
	; wave barrier
	ds_write_b16 v5, v9
	v_or_b32_e32 v13, 2, v10
	v_add_u32_e32 v9, 4, v10
	v_and_b32_e32 v11, 3, v7
	v_sub_u32_e32 v12, v9, v13
	v_sub_u32_e32 v15, v13, v10
	;; [unrolled: 1-line block ×3, first 2 shown]
	v_cmp_ge_i32_e32 vcc, v11, v12
	v_cndmask_b32_e32 v12, 0, v16, vcc
	v_min_i32_e32 v15, v11, v15
	v_lshlrev_b32_e32 v14, 1, v10
	v_cmp_lt_i32_e32 vcc, v12, v15
	; wave barrier
	s_and_saveexec_b64 s[0:1], vcc
	s_cbranch_execz .LBB38_8
; %bb.5:
	v_lshlrev_b32_e32 v16, 1, v11
	v_add3_u32 v16, v14, v16, 4
	s_mov_b64 s[2:3], 0
.LBB38_6:                               ; =>This Inner Loop Header: Depth=1
	v_sub_u32_e32 v17, v15, v12
	v_lshrrev_b32_e32 v18, 31, v17
	v_add_u32_e32 v17, v17, v18
	v_ashrrev_i32_e32 v17, 1, v17
	v_add_u32_e32 v17, v17, v12
	v_not_b32_e32 v19, v17
	v_lshl_add_u32 v18, v17, 1, v14
	v_lshl_add_u32 v19, v19, 1, v16
	ds_read_u16 v18, v18
	ds_read_u16 v19, v19
	v_add_u32_e32 v20, 1, v17
	s_waitcnt lgkmcnt(1)
	v_lshlrev_b32_e32 v18, 16, v18
	s_waitcnt lgkmcnt(0)
	v_lshlrev_b32_e32 v19, 16, v19
	v_cmp_lt_f32_e32 vcc, v19, v18
	v_cndmask_b32_e32 v15, v15, v17, vcc
	v_cndmask_b32_e32 v12, v20, v12, vcc
	v_cmp_ge_i32_e32 vcc, v12, v15
	s_or_b64 s[2:3], vcc, s[2:3]
	s_andn2_b64 exec, exec, s[2:3]
	s_cbranch_execnz .LBB38_6
; %bb.7:
	s_or_b64 exec, exec, s[2:3]
.LBB38_8:
	s_or_b64 exec, exec, s[0:1]
	v_add_u32_e32 v15, v12, v10
	v_add_u32_e32 v10, v10, v11
	v_sub_u32_e32 v10, v10, v12
	v_lshl_add_u32 v14, v12, 1, v14
	v_lshlrev_b32_e32 v10, 1, v10
	v_add_u32_e32 v13, v13, v11
	ds_read_u16 v11, v14
	ds_read_u16 v10, v10 offset:4
	v_sub_u32_e32 v13, v13, v12
	v_cmp_gt_i32_e32 vcc, v9, v13
	v_cmp_lt_i32_e64 s[0:1], 1, v12
	s_waitcnt lgkmcnt(1)
	v_lshlrev_b32_e32 v9, 16, v11
	s_waitcnt lgkmcnt(0)
	v_lshlrev_b32_e32 v12, 16, v10
	v_cmp_lt_f32_e64 s[2:3], v12, v9
	s_or_b64 s[0:1], s[0:1], s[2:3]
	s_and_b64 vcc, vcc, s[0:1]
	v_cndmask_b32_e32 v9, v11, v10, vcc
	v_cndmask_b32_e32 v10, v15, v13, vcc
	; wave barrier
	ds_write_b32 v6, v8
	v_lshlrev_b32_e32 v8, 2, v10
	v_and_b32_e32 v10, 24, v7
	; wave barrier
	ds_read_b32 v8, v8
	; wave barrier
	ds_write_b16 v5, v9
	v_or_b32_e32 v13, 4, v10
	v_add_u32_e32 v9, 8, v10
	v_and_b32_e32 v11, 7, v7
	v_sub_u32_e32 v12, v9, v13
	v_sub_u32_e32 v15, v13, v10
	;; [unrolled: 1-line block ×3, first 2 shown]
	v_cmp_ge_i32_e32 vcc, v11, v12
	v_cndmask_b32_e32 v12, 0, v16, vcc
	v_min_i32_e32 v15, v11, v15
	v_lshlrev_b32_e32 v14, 1, v10
	v_cmp_lt_i32_e32 vcc, v12, v15
	; wave barrier
	s_and_saveexec_b64 s[0:1], vcc
	s_cbranch_execz .LBB38_12
; %bb.9:
	v_lshlrev_b32_e32 v16, 1, v11
	v_add3_u32 v16, v14, v16, 8
	s_mov_b64 s[2:3], 0
.LBB38_10:                              ; =>This Inner Loop Header: Depth=1
	v_sub_u32_e32 v17, v15, v12
	v_lshrrev_b32_e32 v18, 31, v17
	v_add_u32_e32 v17, v17, v18
	v_ashrrev_i32_e32 v17, 1, v17
	v_add_u32_e32 v17, v17, v12
	v_not_b32_e32 v19, v17
	v_lshl_add_u32 v18, v17, 1, v14
	v_lshl_add_u32 v19, v19, 1, v16
	ds_read_u16 v18, v18
	ds_read_u16 v19, v19
	v_add_u32_e32 v20, 1, v17
	s_waitcnt lgkmcnt(1)
	v_lshlrev_b32_e32 v18, 16, v18
	s_waitcnt lgkmcnt(0)
	v_lshlrev_b32_e32 v19, 16, v19
	v_cmp_lt_f32_e32 vcc, v19, v18
	v_cndmask_b32_e32 v15, v15, v17, vcc
	v_cndmask_b32_e32 v12, v20, v12, vcc
	v_cmp_ge_i32_e32 vcc, v12, v15
	s_or_b64 s[2:3], vcc, s[2:3]
	s_andn2_b64 exec, exec, s[2:3]
	s_cbranch_execnz .LBB38_10
; %bb.11:
	s_or_b64 exec, exec, s[2:3]
.LBB38_12:
	s_or_b64 exec, exec, s[0:1]
	v_add_u32_e32 v15, v12, v10
	v_add_u32_e32 v10, v10, v11
	v_sub_u32_e32 v10, v10, v12
	v_lshl_add_u32 v14, v12, 1, v14
	v_lshlrev_b32_e32 v10, 1, v10
	v_add_u32_e32 v13, v13, v11
	ds_read_u16 v11, v14
	ds_read_u16 v10, v10 offset:8
	v_sub_u32_e32 v13, v13, v12
	v_cmp_gt_i32_e32 vcc, v9, v13
	v_cmp_lt_i32_e64 s[0:1], 3, v12
	s_waitcnt lgkmcnt(1)
	v_lshlrev_b32_e32 v9, 16, v11
	s_waitcnt lgkmcnt(0)
	v_lshlrev_b32_e32 v12, 16, v10
	v_cmp_lt_f32_e64 s[2:3], v12, v9
	s_or_b64 s[0:1], s[0:1], s[2:3]
	s_and_b64 vcc, vcc, s[0:1]
	v_cndmask_b32_e32 v9, v11, v10, vcc
	v_cndmask_b32_e32 v10, v15, v13, vcc
	; wave barrier
	ds_write_b32 v6, v8
	v_lshlrev_b32_e32 v8, 2, v10
	; wave barrier
	ds_read_b32 v8, v8
	; wave barrier
	ds_write_b16 v5, v9
	v_and_b32_e32 v9, 16, v7
	v_and_b32_e32 v10, 15, v7
	v_or_b32_e32 v12, 8, v9
	v_add_u32_e32 v7, 16, v9
	v_sub_u32_e32 v11, v7, v12
	v_sub_u32_e32 v14, v12, v9
	v_sub_u32_e32 v15, v10, v11
	v_cmp_ge_i32_e32 vcc, v10, v11
	v_cndmask_b32_e32 v11, 0, v15, vcc
	v_min_i32_e32 v14, v10, v14
	v_lshlrev_b32_e32 v13, 1, v9
	v_cmp_lt_i32_e32 vcc, v11, v14
	; wave barrier
	s_and_saveexec_b64 s[0:1], vcc
	s_cbranch_execz .LBB38_16
; %bb.13:
	v_lshlrev_b32_e32 v15, 1, v10
	v_add3_u32 v15, v13, v15, 16
	s_mov_b64 s[2:3], 0
.LBB38_14:                              ; =>This Inner Loop Header: Depth=1
	v_sub_u32_e32 v16, v14, v11
	v_lshrrev_b32_e32 v17, 31, v16
	v_add_u32_e32 v16, v16, v17
	v_ashrrev_i32_e32 v16, 1, v16
	v_add_u32_e32 v16, v16, v11
	v_not_b32_e32 v18, v16
	v_lshl_add_u32 v17, v16, 1, v13
	v_lshl_add_u32 v18, v18, 1, v15
	ds_read_u16 v17, v17
	ds_read_u16 v18, v18
	v_add_u32_e32 v19, 1, v16
	s_waitcnt lgkmcnt(1)
	v_lshlrev_b32_e32 v17, 16, v17
	s_waitcnt lgkmcnt(0)
	v_lshlrev_b32_e32 v18, 16, v18
	v_cmp_lt_f32_e32 vcc, v18, v17
	v_cndmask_b32_e32 v14, v14, v16, vcc
	v_cndmask_b32_e32 v11, v19, v11, vcc
	v_cmp_ge_i32_e32 vcc, v11, v14
	s_or_b64 s[2:3], vcc, s[2:3]
	s_andn2_b64 exec, exec, s[2:3]
	s_cbranch_execnz .LBB38_14
; %bb.15:
	s_or_b64 exec, exec, s[2:3]
.LBB38_16:
	s_or_b64 exec, exec, s[0:1]
	v_add_u32_e32 v14, v11, v9
	v_add_u32_e32 v9, v9, v10
	v_sub_u32_e32 v9, v9, v11
	v_lshl_add_u32 v13, v11, 1, v13
	v_lshlrev_b32_e32 v9, 1, v9
	v_add_u32_e32 v12, v12, v10
	ds_read_u16 v10, v13
	ds_read_u16 v9, v9 offset:16
	v_sub_u32_e32 v12, v12, v11
	v_cmp_gt_i32_e32 vcc, v7, v12
	v_cmp_lt_i32_e64 s[0:1], 7, v11
	s_waitcnt lgkmcnt(1)
	v_lshlrev_b32_e32 v7, 16, v10
	s_waitcnt lgkmcnt(0)
	v_lshlrev_b32_e32 v11, 16, v9
	v_cmp_lt_f32_e64 s[2:3], v11, v7
	s_or_b64 s[0:1], s[0:1], s[2:3]
	s_and_b64 vcc, vcc, s[0:1]
	v_cndmask_b32_e32 v7, v14, v12, vcc
	v_lshlrev_b32_e32 v7, 2, v7
	; wave barrier
	ds_write_b32 v6, v8
	; wave barrier
	ds_read_b32 v7, v7
	v_cndmask_b32_e32 v9, v10, v9, vcc
	; wave barrier
	ds_write_b16 v5, v9
	v_sub_u32_e64 v8, v4, 16 clamp
	v_min_i32_e32 v9, 16, v4
	v_cmp_lt_u32_e32 vcc, v8, v9
	; wave barrier
	s_and_saveexec_b64 s[0:1], vcc
	s_cbranch_execz .LBB38_20
; %bb.17:
	v_add_u32_e32 v5, 32, v5
	s_mov_b64 s[2:3], 0
.LBB38_18:                              ; =>This Inner Loop Header: Depth=1
	v_sub_u32_e32 v10, v9, v8
	v_lshrrev_b32_e32 v11, 31, v10
	v_add_u32_e32 v10, v10, v11
	v_ashrrev_i32_e32 v10, 1, v10
	v_add_u32_e32 v10, v10, v8
	v_not_b32_e32 v12, v10
	v_lshlrev_b32_e32 v11, 1, v10
	v_lshl_add_u32 v12, v12, 1, v5
	ds_read_u16 v11, v11
	ds_read_u16 v12, v12
	v_add_u32_e32 v13, 1, v10
	s_waitcnt lgkmcnt(1)
	v_lshlrev_b32_e32 v11, 16, v11
	s_waitcnt lgkmcnt(0)
	v_lshlrev_b32_e32 v12, 16, v12
	v_cmp_lt_f32_e32 vcc, v12, v11
	v_cndmask_b32_e32 v9, v9, v10, vcc
	v_cndmask_b32_e32 v8, v13, v8, vcc
	v_cmp_ge_i32_e32 vcc, v8, v9
	s_or_b64 s[2:3], vcc, s[2:3]
	s_andn2_b64 exec, exec, s[2:3]
	s_cbranch_execnz .LBB38_18
; %bb.19:
	s_or_b64 exec, exec, s[2:3]
.LBB38_20:
	s_or_b64 exec, exec, s[0:1]
	v_sub_u32_e32 v4, v4, v8
	v_lshlrev_b32_e32 v5, 1, v8
	v_lshlrev_b32_e32 v9, 1, v4
	ds_read_u16 v5, v5
	ds_read_u16 v9, v9 offset:32
	v_add_u32_e32 v4, 16, v4
	v_cmp_lt_i32_e64 s[0:1], 15, v8
	v_cmp_gt_i32_e32 vcc, 32, v4
	s_waitcnt lgkmcnt(1)
	v_lshlrev_b32_e32 v10, 16, v5
	s_waitcnt lgkmcnt(0)
	v_lshlrev_b32_e32 v11, 16, v9
	v_cmp_lt_f32_e64 s[2:3], v11, v10
	s_or_b64 s[0:1], s[0:1], s[2:3]
	s_and_b64 vcc, vcc, s[0:1]
	v_cndmask_b32_e32 v4, v8, v4, vcc
	v_lshlrev_b32_e32 v4, 2, v4
	; wave barrier
	ds_write_b32 v6, v7
	; wave barrier
	ds_read_b32 v4, v4
	v_cndmask_b32_e32 v5, v5, v9, vcc
	global_store_short v[0:1], v5, off
	s_waitcnt lgkmcnt(0)
	global_store_dword v[2:3], v4, off
	s_endpgm
	.section	.rodata,"a",@progbits
	.p2align	6, 0x0
	.amdhsa_kernel _Z21sort_keys_values_fullILj32ELj32ELj1ELb0E12hip_bfloat16iN10test_utils4lessEEvPT3_PT4_T5_
		.amdhsa_group_segment_fixed_size 132
		.amdhsa_private_segment_fixed_size 0
		.amdhsa_kernarg_size 20
		.amdhsa_user_sgpr_count 6
		.amdhsa_user_sgpr_private_segment_buffer 1
		.amdhsa_user_sgpr_dispatch_ptr 0
		.amdhsa_user_sgpr_queue_ptr 0
		.amdhsa_user_sgpr_kernarg_segment_ptr 1
		.amdhsa_user_sgpr_dispatch_id 0
		.amdhsa_user_sgpr_flat_scratch_init 0
		.amdhsa_user_sgpr_kernarg_preload_length 0
		.amdhsa_user_sgpr_kernarg_preload_offset 0
		.amdhsa_user_sgpr_private_segment_size 0
		.amdhsa_uses_dynamic_stack 0
		.amdhsa_system_sgpr_private_segment_wavefront_offset 0
		.amdhsa_system_sgpr_workgroup_id_x 1
		.amdhsa_system_sgpr_workgroup_id_y 0
		.amdhsa_system_sgpr_workgroup_id_z 0
		.amdhsa_system_sgpr_workgroup_info 0
		.amdhsa_system_vgpr_workitem_id 0
		.amdhsa_next_free_vgpr 21
		.amdhsa_next_free_sgpr 8
		.amdhsa_accum_offset 24
		.amdhsa_reserve_vcc 1
		.amdhsa_reserve_flat_scratch 0
		.amdhsa_float_round_mode_32 0
		.amdhsa_float_round_mode_16_64 0
		.amdhsa_float_denorm_mode_32 3
		.amdhsa_float_denorm_mode_16_64 3
		.amdhsa_dx10_clamp 1
		.amdhsa_ieee_mode 1
		.amdhsa_fp16_overflow 0
		.amdhsa_tg_split 0
		.amdhsa_exception_fp_ieee_invalid_op 0
		.amdhsa_exception_fp_denorm_src 0
		.amdhsa_exception_fp_ieee_div_zero 0
		.amdhsa_exception_fp_ieee_overflow 0
		.amdhsa_exception_fp_ieee_underflow 0
		.amdhsa_exception_fp_ieee_inexact 0
		.amdhsa_exception_int_div_zero 0
	.end_amdhsa_kernel
	.section	.text._Z21sort_keys_values_fullILj32ELj32ELj1ELb0E12hip_bfloat16iN10test_utils4lessEEvPT3_PT4_T5_,"axG",@progbits,_Z21sort_keys_values_fullILj32ELj32ELj1ELb0E12hip_bfloat16iN10test_utils4lessEEvPT3_PT4_T5_,comdat
.Lfunc_end38:
	.size	_Z21sort_keys_values_fullILj32ELj32ELj1ELb0E12hip_bfloat16iN10test_utils4lessEEvPT3_PT4_T5_, .Lfunc_end38-_Z21sort_keys_values_fullILj32ELj32ELj1ELb0E12hip_bfloat16iN10test_utils4lessEEvPT3_PT4_T5_
                                        ; -- End function
	.section	.AMDGPU.csdata,"",@progbits
; Kernel info:
; codeLenInByte = 1652
; NumSgprs: 12
; NumVgprs: 21
; NumAgprs: 0
; TotalNumVgprs: 21
; ScratchSize: 0
; MemoryBound: 0
; FloatMode: 240
; IeeeMode: 1
; LDSByteSize: 132 bytes/workgroup (compile time only)
; SGPRBlocks: 1
; VGPRBlocks: 2
; NumSGPRsForWavesPerEU: 12
; NumVGPRsForWavesPerEU: 21
; AccumOffset: 24
; Occupancy: 8
; WaveLimiterHint : 0
; COMPUTE_PGM_RSRC2:SCRATCH_EN: 0
; COMPUTE_PGM_RSRC2:USER_SGPR: 6
; COMPUTE_PGM_RSRC2:TRAP_HANDLER: 0
; COMPUTE_PGM_RSRC2:TGID_X_EN: 1
; COMPUTE_PGM_RSRC2:TGID_Y_EN: 0
; COMPUTE_PGM_RSRC2:TGID_Z_EN: 0
; COMPUTE_PGM_RSRC2:TIDIG_COMP_CNT: 0
; COMPUTE_PGM_RSRC3_GFX90A:ACCUM_OFFSET: 5
; COMPUTE_PGM_RSRC3_GFX90A:TG_SPLIT: 0
	.section	.text._Z21sort_keys_values_fullILj32ELj32ELj1ELb0E6__halfiN10test_utils4lessEEvPT3_PT4_T5_,"axG",@progbits,_Z21sort_keys_values_fullILj32ELj32ELj1ELb0E6__halfiN10test_utils4lessEEvPT3_PT4_T5_,comdat
	.protected	_Z21sort_keys_values_fullILj32ELj32ELj1ELb0E6__halfiN10test_utils4lessEEvPT3_PT4_T5_ ; -- Begin function _Z21sort_keys_values_fullILj32ELj32ELj1ELb0E6__halfiN10test_utils4lessEEvPT3_PT4_T5_
	.globl	_Z21sort_keys_values_fullILj32ELj32ELj1ELb0E6__halfiN10test_utils4lessEEvPT3_PT4_T5_
	.p2align	8
	.type	_Z21sort_keys_values_fullILj32ELj32ELj1ELb0E6__halfiN10test_utils4lessEEvPT3_PT4_T5_,@function
_Z21sort_keys_values_fullILj32ELj32ELj1ELb0E6__halfiN10test_utils4lessEEvPT3_PT4_T5_: ; @_Z21sort_keys_values_fullILj32ELj32ELj1ELb0E6__halfiN10test_utils4lessEEvPT3_PT4_T5_
; %bb.0:
	s_load_dwordx4 s[0:3], s[4:5], 0x0
	s_lshl_b32 s4, s6, 5
	s_mov_b32 s5, 0
	s_lshl_b64 s[6:7], s[4:5], 1
	v_lshlrev_b32_e32 v1, 1, v0
	s_waitcnt lgkmcnt(0)
	s_add_u32 s0, s0, s6
	s_addc_u32 s1, s1, s7
	s_lshl_b64 s[4:5], s[4:5], 2
	global_load_ushort v13, v1, s[0:1]
	s_add_u32 s2, s2, s4
	s_addc_u32 s3, s3, s5
	v_lshlrev_b32_e32 v2, 2, v0
	global_load_dword v8, v2, s[2:3]
	v_mbcnt_lo_u32_b32 v0, -1, 0
	v_mbcnt_hi_u32_b32 v7, -1, v0
	v_and_b32_e32 v10, 30, v7
	v_or_b32_e32 v9, 1, v10
	v_sub_u32_e32 v0, v10, v9
	v_and_b32_e32 v6, 1, v7
	v_add_u32_e32 v0, 2, v0
	v_sub_u32_e32 v3, v6, v0
	v_cmp_ge_i32_e32 vcc, v6, v0
	v_cndmask_b32_e32 v11, 0, v3, vcc
	v_mov_b32_e32 v3, s1
	v_add_co_u32_e32 v0, vcc, s0, v1
	v_and_b32_e32 v4, 31, v7
	v_addc_co_u32_e32 v1, vcc, 0, v3, vcc
	v_lshlrev_b32_e32 v5, 1, v4
	v_sub_u32_e32 v14, v9, v10
	v_mov_b32_e32 v3, s3
	v_add_co_u32_e32 v2, vcc, s2, v2
	; wave barrier
	v_addc_co_u32_e32 v3, vcc, 0, v3, vcc
	v_lshlrev_b32_e32 v12, 1, v10
	s_waitcnt vmcnt(1)
	ds_write_b16 v5, v13
	v_min_i32_e32 v13, v6, v14
	v_cmp_lt_i32_e32 vcc, v11, v13
	; wave barrier
	s_and_saveexec_b64 s[0:1], vcc
	s_cbranch_execz .LBB39_4
; %bb.1:
	v_lshlrev_b32_e32 v14, 1, v6
	v_add3_u32 v14, v12, v14, 2
	s_mov_b64 s[2:3], 0
.LBB39_2:                               ; =>This Inner Loop Header: Depth=1
	v_sub_u32_e32 v15, v13, v11
	v_lshrrev_b32_e32 v16, 31, v15
	v_add_u32_e32 v15, v15, v16
	v_ashrrev_i32_e32 v15, 1, v15
	v_add_u32_e32 v15, v15, v11
	v_not_b32_e32 v17, v15
	v_lshl_add_u32 v16, v15, 1, v12
	v_lshl_add_u32 v17, v17, 1, v14
	ds_read_u16 v16, v16
	ds_read_u16 v17, v17
	v_add_u32_e32 v18, 1, v15
	s_waitcnt lgkmcnt(0)
	v_cmp_lt_f16_e32 vcc, v17, v16
	v_cndmask_b32_e32 v13, v13, v15, vcc
	v_cndmask_b32_e32 v11, v18, v11, vcc
	v_cmp_ge_i32_e32 vcc, v11, v13
	s_or_b64 s[2:3], vcc, s[2:3]
	s_andn2_b64 exec, exec, s[2:3]
	s_cbranch_execnz .LBB39_2
; %bb.3:
	s_or_b64 exec, exec, s[2:3]
.LBB39_4:
	s_or_b64 exec, exec, s[0:1]
	v_add_u32_e32 v13, v11, v10
	v_add_u32_e32 v10, v10, v6
	v_sub_u32_e32 v10, v10, v11
	v_lshl_add_u32 v12, v11, 1, v12
	v_lshlrev_b32_e32 v10, 1, v10
	ds_read_u16 v12, v12
	ds_read_u16 v10, v10 offset:2
	v_add_u32_e32 v6, v9, v6
	v_sub_u32_e32 v6, v6, v11
	v_cmp_lt_i32_e64 s[0:1], 0, v11
	v_cmp_ge_i32_e32 vcc, v9, v6
	s_waitcnt lgkmcnt(0)
	v_cmp_lt_f16_e64 s[2:3], v10, v12
	s_or_b64 s[0:1], s[0:1], s[2:3]
	s_and_b64 vcc, vcc, s[0:1]
	v_cndmask_b32_e32 v9, v12, v10, vcc
	v_cndmask_b32_e32 v10, v13, v6, vcc
	v_add_u32_e32 v6, v5, v5
	; wave barrier
	s_waitcnt vmcnt(0)
	ds_write_b32 v6, v8
	v_lshlrev_b32_e32 v8, 2, v10
	v_and_b32_e32 v12, 28, v7
	; wave barrier
	ds_read_b32 v8, v8
	v_or_b32_e32 v11, 2, v12
	v_add_u32_e32 v10, 4, v12
	; wave barrier
	ds_write_b16 v5, v9
	v_and_b32_e32 v9, 3, v7
	v_sub_u32_e32 v13, v10, v11
	v_sub_u32_e32 v15, v11, v12
	;; [unrolled: 1-line block ×3, first 2 shown]
	v_cmp_ge_i32_e32 vcc, v9, v13
	v_cndmask_b32_e32 v13, 0, v16, vcc
	v_min_i32_e32 v15, v9, v15
	v_lshlrev_b32_e32 v14, 1, v12
	v_cmp_lt_i32_e32 vcc, v13, v15
	; wave barrier
	s_and_saveexec_b64 s[0:1], vcc
	s_cbranch_execz .LBB39_8
; %bb.5:
	v_lshlrev_b32_e32 v16, 1, v9
	v_add3_u32 v16, v14, v16, 4
	s_mov_b64 s[2:3], 0
.LBB39_6:                               ; =>This Inner Loop Header: Depth=1
	v_sub_u32_e32 v17, v15, v13
	v_lshrrev_b32_e32 v18, 31, v17
	v_add_u32_e32 v17, v17, v18
	v_ashrrev_i32_e32 v17, 1, v17
	v_add_u32_e32 v17, v17, v13
	v_not_b32_e32 v19, v17
	v_lshl_add_u32 v18, v17, 1, v14
	v_lshl_add_u32 v19, v19, 1, v16
	ds_read_u16 v18, v18
	ds_read_u16 v19, v19
	v_add_u32_e32 v20, 1, v17
	s_waitcnt lgkmcnt(0)
	v_cmp_lt_f16_e32 vcc, v19, v18
	v_cndmask_b32_e32 v15, v15, v17, vcc
	v_cndmask_b32_e32 v13, v20, v13, vcc
	v_cmp_ge_i32_e32 vcc, v13, v15
	s_or_b64 s[2:3], vcc, s[2:3]
	s_andn2_b64 exec, exec, s[2:3]
	s_cbranch_execnz .LBB39_6
; %bb.7:
	s_or_b64 exec, exec, s[2:3]
.LBB39_8:
	s_or_b64 exec, exec, s[0:1]
	v_add_u32_e32 v15, v13, v12
	v_add_u32_e32 v12, v12, v9
	v_sub_u32_e32 v12, v12, v13
	v_lshl_add_u32 v14, v13, 1, v14
	v_lshlrev_b32_e32 v12, 1, v12
	ds_read_u16 v14, v14
	ds_read_u16 v12, v12 offset:4
	v_add_u32_e32 v9, v11, v9
	v_sub_u32_e32 v9, v9, v13
	v_cmp_lt_i32_e64 s[0:1], 1, v13
	v_cmp_gt_i32_e32 vcc, v10, v9
	s_waitcnt lgkmcnt(0)
	v_cmp_lt_f16_e64 s[2:3], v12, v14
	s_or_b64 s[0:1], s[0:1], s[2:3]
	s_and_b64 vcc, vcc, s[0:1]
	v_cndmask_b32_e32 v9, v15, v9, vcc
	v_cndmask_b32_e32 v10, v14, v12, vcc
	; wave barrier
	ds_write_b32 v6, v8
	v_lshlrev_b32_e32 v8, 2, v9
	v_and_b32_e32 v12, 24, v7
	; wave barrier
	ds_read_b32 v8, v8
	; wave barrier
	ds_write_b16 v5, v10
	v_or_b32_e32 v11, 4, v12
	v_add_u32_e32 v10, 8, v12
	v_and_b32_e32 v9, 7, v7
	v_sub_u32_e32 v13, v10, v11
	v_sub_u32_e32 v15, v11, v12
	;; [unrolled: 1-line block ×3, first 2 shown]
	v_cmp_ge_i32_e32 vcc, v9, v13
	v_cndmask_b32_e32 v13, 0, v16, vcc
	v_min_i32_e32 v15, v9, v15
	v_lshlrev_b32_e32 v14, 1, v12
	v_cmp_lt_i32_e32 vcc, v13, v15
	; wave barrier
	s_and_saveexec_b64 s[0:1], vcc
	s_cbranch_execz .LBB39_12
; %bb.9:
	v_lshlrev_b32_e32 v16, 1, v9
	v_add3_u32 v16, v14, v16, 8
	s_mov_b64 s[2:3], 0
.LBB39_10:                              ; =>This Inner Loop Header: Depth=1
	v_sub_u32_e32 v17, v15, v13
	v_lshrrev_b32_e32 v18, 31, v17
	v_add_u32_e32 v17, v17, v18
	v_ashrrev_i32_e32 v17, 1, v17
	v_add_u32_e32 v17, v17, v13
	v_not_b32_e32 v19, v17
	v_lshl_add_u32 v18, v17, 1, v14
	v_lshl_add_u32 v19, v19, 1, v16
	ds_read_u16 v18, v18
	ds_read_u16 v19, v19
	v_add_u32_e32 v20, 1, v17
	s_waitcnt lgkmcnt(0)
	v_cmp_lt_f16_e32 vcc, v19, v18
	v_cndmask_b32_e32 v15, v15, v17, vcc
	v_cndmask_b32_e32 v13, v20, v13, vcc
	v_cmp_ge_i32_e32 vcc, v13, v15
	s_or_b64 s[2:3], vcc, s[2:3]
	s_andn2_b64 exec, exec, s[2:3]
	s_cbranch_execnz .LBB39_10
; %bb.11:
	s_or_b64 exec, exec, s[2:3]
.LBB39_12:
	s_or_b64 exec, exec, s[0:1]
	v_add_u32_e32 v15, v13, v12
	v_add_u32_e32 v12, v12, v9
	v_sub_u32_e32 v12, v12, v13
	v_lshl_add_u32 v14, v13, 1, v14
	v_lshlrev_b32_e32 v12, 1, v12
	ds_read_u16 v14, v14
	ds_read_u16 v12, v12 offset:8
	v_add_u32_e32 v9, v11, v9
	v_sub_u32_e32 v9, v9, v13
	v_cmp_lt_i32_e64 s[0:1], 3, v13
	v_cmp_gt_i32_e32 vcc, v10, v9
	s_waitcnt lgkmcnt(0)
	v_cmp_lt_f16_e64 s[2:3], v12, v14
	s_or_b64 s[0:1], s[0:1], s[2:3]
	s_and_b64 vcc, vcc, s[0:1]
	v_cndmask_b32_e32 v9, v15, v9, vcc
	v_cndmask_b32_e32 v10, v14, v12, vcc
	; wave barrier
	ds_write_b32 v6, v8
	v_lshlrev_b32_e32 v8, 2, v9
	v_and_b32_e32 v11, 16, v7
	; wave barrier
	ds_read_b32 v8, v8
	; wave barrier
	ds_write_b16 v5, v10
	v_or_b32_e32 v10, 8, v11
	v_add_u32_e32 v9, 16, v11
	v_and_b32_e32 v7, 15, v7
	v_sub_u32_e32 v12, v9, v10
	v_sub_u32_e32 v14, v10, v11
	;; [unrolled: 1-line block ×3, first 2 shown]
	v_cmp_ge_i32_e32 vcc, v7, v12
	v_cndmask_b32_e32 v12, 0, v15, vcc
	v_min_i32_e32 v14, v7, v14
	v_lshlrev_b32_e32 v13, 1, v11
	v_cmp_lt_i32_e32 vcc, v12, v14
	; wave barrier
	s_and_saveexec_b64 s[0:1], vcc
	s_cbranch_execz .LBB39_16
; %bb.13:
	v_lshlrev_b32_e32 v15, 1, v7
	v_add3_u32 v15, v13, v15, 16
	s_mov_b64 s[2:3], 0
.LBB39_14:                              ; =>This Inner Loop Header: Depth=1
	v_sub_u32_e32 v16, v14, v12
	v_lshrrev_b32_e32 v17, 31, v16
	v_add_u32_e32 v16, v16, v17
	v_ashrrev_i32_e32 v16, 1, v16
	v_add_u32_e32 v16, v16, v12
	v_not_b32_e32 v18, v16
	v_lshl_add_u32 v17, v16, 1, v13
	v_lshl_add_u32 v18, v18, 1, v15
	ds_read_u16 v17, v17
	ds_read_u16 v18, v18
	v_add_u32_e32 v19, 1, v16
	s_waitcnt lgkmcnt(0)
	v_cmp_lt_f16_e32 vcc, v18, v17
	v_cndmask_b32_e32 v14, v14, v16, vcc
	v_cndmask_b32_e32 v12, v19, v12, vcc
	v_cmp_ge_i32_e32 vcc, v12, v14
	s_or_b64 s[2:3], vcc, s[2:3]
	s_andn2_b64 exec, exec, s[2:3]
	s_cbranch_execnz .LBB39_14
; %bb.15:
	s_or_b64 exec, exec, s[2:3]
.LBB39_16:
	s_or_b64 exec, exec, s[0:1]
	v_add_u32_e32 v14, v12, v11
	v_add_u32_e32 v11, v11, v7
	v_sub_u32_e32 v11, v11, v12
	v_lshl_add_u32 v13, v12, 1, v13
	v_lshlrev_b32_e32 v11, 1, v11
	ds_read_u16 v13, v13
	ds_read_u16 v11, v11 offset:16
	v_add_u32_e32 v7, v10, v7
	v_sub_u32_e32 v7, v7, v12
	v_cmp_lt_i32_e64 s[0:1], 7, v12
	v_cmp_gt_i32_e32 vcc, v9, v7
	s_waitcnt lgkmcnt(0)
	v_cmp_lt_f16_e64 s[2:3], v11, v13
	s_or_b64 s[0:1], s[0:1], s[2:3]
	s_and_b64 vcc, vcc, s[0:1]
	v_cndmask_b32_e32 v7, v14, v7, vcc
	v_lshlrev_b32_e32 v7, 2, v7
	; wave barrier
	ds_write_b32 v6, v8
	; wave barrier
	ds_read_b32 v7, v7
	v_cndmask_b32_e32 v9, v13, v11, vcc
	; wave barrier
	ds_write_b16 v5, v9
	v_sub_u32_e64 v8, v4, 16 clamp
	v_min_i32_e32 v9, 16, v4
	v_cmp_lt_u32_e32 vcc, v8, v9
	; wave barrier
	s_and_saveexec_b64 s[0:1], vcc
	s_cbranch_execz .LBB39_20
; %bb.17:
	v_add_u32_e32 v5, 32, v5
	s_mov_b64 s[2:3], 0
.LBB39_18:                              ; =>This Inner Loop Header: Depth=1
	v_sub_u32_e32 v10, v9, v8
	v_lshrrev_b32_e32 v11, 31, v10
	v_add_u32_e32 v10, v10, v11
	v_ashrrev_i32_e32 v10, 1, v10
	v_add_u32_e32 v10, v10, v8
	v_not_b32_e32 v12, v10
	v_lshlrev_b32_e32 v11, 1, v10
	v_lshl_add_u32 v12, v12, 1, v5
	ds_read_u16 v11, v11
	ds_read_u16 v12, v12
	v_add_u32_e32 v13, 1, v10
	s_waitcnt lgkmcnt(0)
	v_cmp_lt_f16_e32 vcc, v12, v11
	v_cndmask_b32_e32 v9, v9, v10, vcc
	v_cndmask_b32_e32 v8, v13, v8, vcc
	v_cmp_ge_i32_e32 vcc, v8, v9
	s_or_b64 s[2:3], vcc, s[2:3]
	s_andn2_b64 exec, exec, s[2:3]
	s_cbranch_execnz .LBB39_18
; %bb.19:
	s_or_b64 exec, exec, s[2:3]
.LBB39_20:
	s_or_b64 exec, exec, s[0:1]
	v_sub_u32_e32 v4, v4, v8
	v_lshlrev_b32_e32 v5, 1, v8
	v_lshlrev_b32_e32 v9, 1, v4
	ds_read_u16 v5, v5
	ds_read_u16 v9, v9 offset:32
	v_add_u32_e32 v4, 16, v4
	v_cmp_lt_i32_e64 s[0:1], 15, v8
	v_cmp_gt_i32_e32 vcc, 32, v4
	s_waitcnt lgkmcnt(0)
	v_cmp_lt_f16_e64 s[2:3], v9, v5
	s_or_b64 s[0:1], s[0:1], s[2:3]
	s_and_b64 vcc, vcc, s[0:1]
	v_cndmask_b32_e32 v4, v8, v4, vcc
	v_lshlrev_b32_e32 v4, 2, v4
	; wave barrier
	ds_write_b32 v6, v7
	; wave barrier
	ds_read_b32 v4, v4
	v_cndmask_b32_e32 v5, v5, v9, vcc
	global_store_short v[0:1], v5, off
	s_waitcnt lgkmcnt(0)
	global_store_dword v[2:3], v4, off
	s_endpgm
	.section	.rodata,"a",@progbits
	.p2align	6, 0x0
	.amdhsa_kernel _Z21sort_keys_values_fullILj32ELj32ELj1ELb0E6__halfiN10test_utils4lessEEvPT3_PT4_T5_
		.amdhsa_group_segment_fixed_size 132
		.amdhsa_private_segment_fixed_size 0
		.amdhsa_kernarg_size 20
		.amdhsa_user_sgpr_count 6
		.amdhsa_user_sgpr_private_segment_buffer 1
		.amdhsa_user_sgpr_dispatch_ptr 0
		.amdhsa_user_sgpr_queue_ptr 0
		.amdhsa_user_sgpr_kernarg_segment_ptr 1
		.amdhsa_user_sgpr_dispatch_id 0
		.amdhsa_user_sgpr_flat_scratch_init 0
		.amdhsa_user_sgpr_kernarg_preload_length 0
		.amdhsa_user_sgpr_kernarg_preload_offset 0
		.amdhsa_user_sgpr_private_segment_size 0
		.amdhsa_uses_dynamic_stack 0
		.amdhsa_system_sgpr_private_segment_wavefront_offset 0
		.amdhsa_system_sgpr_workgroup_id_x 1
		.amdhsa_system_sgpr_workgroup_id_y 0
		.amdhsa_system_sgpr_workgroup_id_z 0
		.amdhsa_system_sgpr_workgroup_info 0
		.amdhsa_system_vgpr_workitem_id 0
		.amdhsa_next_free_vgpr 21
		.amdhsa_next_free_sgpr 8
		.amdhsa_accum_offset 24
		.amdhsa_reserve_vcc 1
		.amdhsa_reserve_flat_scratch 0
		.amdhsa_float_round_mode_32 0
		.amdhsa_float_round_mode_16_64 0
		.amdhsa_float_denorm_mode_32 3
		.amdhsa_float_denorm_mode_16_64 3
		.amdhsa_dx10_clamp 1
		.amdhsa_ieee_mode 1
		.amdhsa_fp16_overflow 0
		.amdhsa_tg_split 0
		.amdhsa_exception_fp_ieee_invalid_op 0
		.amdhsa_exception_fp_denorm_src 0
		.amdhsa_exception_fp_ieee_div_zero 0
		.amdhsa_exception_fp_ieee_overflow 0
		.amdhsa_exception_fp_ieee_underflow 0
		.amdhsa_exception_fp_ieee_inexact 0
		.amdhsa_exception_int_div_zero 0
	.end_amdhsa_kernel
	.section	.text._Z21sort_keys_values_fullILj32ELj32ELj1ELb0E6__halfiN10test_utils4lessEEvPT3_PT4_T5_,"axG",@progbits,_Z21sort_keys_values_fullILj32ELj32ELj1ELb0E6__halfiN10test_utils4lessEEvPT3_PT4_T5_,comdat
.Lfunc_end39:
	.size	_Z21sort_keys_values_fullILj32ELj32ELj1ELb0E6__halfiN10test_utils4lessEEvPT3_PT4_T5_, .Lfunc_end39-_Z21sort_keys_values_fullILj32ELj32ELj1ELb0E6__halfiN10test_utils4lessEEvPT3_PT4_T5_
                                        ; -- End function
	.section	.AMDGPU.csdata,"",@progbits
; Kernel info:
; codeLenInByte = 1532
; NumSgprs: 12
; NumVgprs: 21
; NumAgprs: 0
; TotalNumVgprs: 21
; ScratchSize: 0
; MemoryBound: 0
; FloatMode: 240
; IeeeMode: 1
; LDSByteSize: 132 bytes/workgroup (compile time only)
; SGPRBlocks: 1
; VGPRBlocks: 2
; NumSGPRsForWavesPerEU: 12
; NumVGPRsForWavesPerEU: 21
; AccumOffset: 24
; Occupancy: 8
; WaveLimiterHint : 0
; COMPUTE_PGM_RSRC2:SCRATCH_EN: 0
; COMPUTE_PGM_RSRC2:USER_SGPR: 6
; COMPUTE_PGM_RSRC2:TRAP_HANDLER: 0
; COMPUTE_PGM_RSRC2:TGID_X_EN: 1
; COMPUTE_PGM_RSRC2:TGID_Y_EN: 0
; COMPUTE_PGM_RSRC2:TGID_Z_EN: 0
; COMPUTE_PGM_RSRC2:TIDIG_COMP_CNT: 0
; COMPUTE_PGM_RSRC3_GFX90A:ACCUM_OFFSET: 5
; COMPUTE_PGM_RSRC3_GFX90A:TG_SPLIT: 0
	.section	.text._Z21sort_keys_values_fullILj512ELj64ELj1ELb0EsiN10test_utils4lessEEvPT3_PT4_T5_,"axG",@progbits,_Z21sort_keys_values_fullILj512ELj64ELj1ELb0EsiN10test_utils4lessEEvPT3_PT4_T5_,comdat
	.protected	_Z21sort_keys_values_fullILj512ELj64ELj1ELb0EsiN10test_utils4lessEEvPT3_PT4_T5_ ; -- Begin function _Z21sort_keys_values_fullILj512ELj64ELj1ELb0EsiN10test_utils4lessEEvPT3_PT4_T5_
	.globl	_Z21sort_keys_values_fullILj512ELj64ELj1ELb0EsiN10test_utils4lessEEvPT3_PT4_T5_
	.p2align	8
	.type	_Z21sort_keys_values_fullILj512ELj64ELj1ELb0EsiN10test_utils4lessEEvPT3_PT4_T5_,@function
_Z21sort_keys_values_fullILj512ELj64ELj1ELb0EsiN10test_utils4lessEEvPT3_PT4_T5_: ; @_Z21sort_keys_values_fullILj512ELj64ELj1ELb0EsiN10test_utils4lessEEvPT3_PT4_T5_
; %bb.0:
	s_load_dwordx4 s[0:3], s[4:5], 0x0
	s_lshl_b32 s4, s6, 9
	s_mov_b32 s5, 0
	s_lshl_b64 s[6:7], s[4:5], 1
	v_lshlrev_b32_e32 v1, 1, v0
	s_waitcnt lgkmcnt(0)
	s_add_u32 s0, s0, s6
	s_addc_u32 s1, s1, s7
	s_lshl_b64 s[4:5], s[4:5], 2
	global_load_ushort v15, v1, s[0:1]
	s_add_u32 s2, s2, s4
	s_addc_u32 s3, s3, s5
	v_lshlrev_b32_e32 v2, 2, v0
	global_load_dword v8, v2, s[2:3]
	v_mbcnt_lo_u32_b32 v3, -1, 0
	v_mbcnt_hi_u32_b32 v5, -1, v3
	v_and_b32_e32 v3, 0x7e, v5
	v_min_i32_e32 v9, 64, v3
	v_or_b32_e32 v3, 1, v9
	s_movk_i32 s4, 0x104
	v_lshrrev_b32_e32 v0, 6, v0
	v_lshlrev_b32_e32 v7, 1, v5
	v_lshlrev_b32_e32 v13, 1, v9
	v_min_i32_e32 v11, 64, v3
	v_min_i32_e32 v12, 63, v3
	v_mul_u32_u24_e32 v4, 0x104, v0
	v_mad_u32_u24 v6, v0, s4, v7
	v_mad_u32_u24 v13, v0, s4, v13
	v_sub_u32_e32 v0, v12, v11
	v_add_u32_e32 v3, 1, v0
	v_mov_b32_e32 v14, s1
	v_add_co_u32_e32 v0, vcc, s0, v1
	v_and_b32_e32 v10, 1, v5
	v_addc_co_u32_e32 v1, vcc, 0, v14, vcc
	v_sub_u32_e32 v17, v10, v3
	v_cmp_ge_i32_e32 vcc, v10, v3
	v_sub_u32_e32 v16, v11, v9
	v_cndmask_b32_e32 v14, 0, v17, vcc
	v_mov_b32_e32 v3, s3
	v_add_co_u32_e32 v2, vcc, s2, v2
	; wave barrier
	v_addc_co_u32_e32 v3, vcc, 0, v3, vcc
	s_waitcnt vmcnt(1)
	ds_write_b16 v6, v15
	v_min_i32_e32 v15, v10, v16
	v_cmp_lt_i32_e32 vcc, v14, v15
	; wave barrier
	s_and_saveexec_b64 s[0:1], vcc
	s_cbranch_execz .LBB40_4
; %bb.1:
	v_lshlrev_b32_e32 v16, 1, v11
	v_lshlrev_b32_e32 v17, 1, v10
	v_add3_u32 v16, v4, v16, v17
	s_mov_b64 s[2:3], 0
.LBB40_2:                               ; =>This Inner Loop Header: Depth=1
	v_sub_u32_e32 v17, v15, v14
	v_lshrrev_b32_e32 v18, 31, v17
	v_add_u32_e32 v17, v17, v18
	v_ashrrev_i32_e32 v17, 1, v17
	v_add_u32_e32 v17, v17, v14
	v_not_b32_e32 v19, v17
	v_lshl_add_u32 v18, v17, 1, v13
	v_lshl_add_u32 v19, v19, 1, v16
	ds_read_u16 v18, v18
	ds_read_u16 v19, v19
	v_add_u32_e32 v20, 1, v17
	s_waitcnt lgkmcnt(0)
	v_cmp_lt_i16_e32 vcc, v19, v18
	v_cndmask_b32_e32 v15, v15, v17, vcc
	v_cndmask_b32_e32 v14, v20, v14, vcc
	v_cmp_ge_i32_e32 vcc, v14, v15
	s_or_b64 s[2:3], vcc, s[2:3]
	s_andn2_b64 exec, exec, s[2:3]
	s_cbranch_execnz .LBB40_2
; %bb.3:
	s_or_b64 exec, exec, s[2:3]
.LBB40_4:
	s_or_b64 exec, exec, s[0:1]
	v_add_u32_e32 v10, v11, v10
	v_sub_u32_e32 v10, v10, v14
	v_lshl_add_u32 v13, v14, 1, v13
	v_lshl_add_u32 v15, v10, 1, v4
	ds_read_u16 v13, v13
	ds_read_u16 v15, v15
	v_add_u32_e32 v9, v14, v9
	v_cmp_le_i32_e64 s[0:1], v11, v9
	v_cmp_ge_i32_e32 vcc, v12, v10
	v_add_u32_e32 v7, v6, v7
	s_waitcnt lgkmcnt(0)
	v_cmp_lt_i16_e64 s[2:3], v15, v13
	s_or_b64 s[0:1], s[0:1], s[2:3]
	s_and_b64 vcc, vcc, s[0:1]
	v_cndmask_b32_e32 v9, v9, v10, vcc
	; wave barrier
	s_waitcnt vmcnt(0)
	ds_write_b32 v7, v8
	v_lshl_add_u32 v8, v9, 2, v4
	v_and_b32_e32 v9, 0x7c, v5
	v_cndmask_b32_e32 v11, v13, v15, vcc
	v_min_i32_e32 v9, 64, v9
	; wave barrier
	ds_read_b32 v8, v8
	; wave barrier
	ds_write_b16 v6, v11
	v_or_b32_e32 v11, 2, v9
	v_min_i32_e32 v10, 64, v11
	v_min_i32_e32 v11, 62, v11
	v_add_u32_e32 v11, 2, v11
	v_and_b32_e32 v12, 3, v5
	v_sub_u32_e32 v13, v11, v10
	v_sub_u32_e32 v15, v10, v9
	;; [unrolled: 1-line block ×3, first 2 shown]
	v_cmp_ge_i32_e32 vcc, v12, v13
	v_cndmask_b32_e32 v13, 0, v16, vcc
	v_min_i32_e32 v15, v12, v15
	v_lshl_add_u32 v14, v9, 1, v4
	v_cmp_lt_i32_e32 vcc, v13, v15
	; wave barrier
	s_and_saveexec_b64 s[0:1], vcc
	s_cbranch_execz .LBB40_8
; %bb.5:
	v_lshlrev_b32_e32 v16, 1, v10
	v_lshlrev_b32_e32 v17, 1, v12
	v_add3_u32 v16, v4, v16, v17
	s_mov_b64 s[2:3], 0
.LBB40_6:                               ; =>This Inner Loop Header: Depth=1
	v_sub_u32_e32 v17, v15, v13
	v_lshrrev_b32_e32 v18, 31, v17
	v_add_u32_e32 v17, v17, v18
	v_ashrrev_i32_e32 v17, 1, v17
	v_add_u32_e32 v17, v17, v13
	v_not_b32_e32 v19, v17
	v_lshl_add_u32 v18, v17, 1, v14
	v_lshl_add_u32 v19, v19, 1, v16
	ds_read_u16 v18, v18
	ds_read_u16 v19, v19
	v_add_u32_e32 v20, 1, v17
	s_waitcnt lgkmcnt(0)
	v_cmp_lt_i16_e32 vcc, v19, v18
	v_cndmask_b32_e32 v15, v15, v17, vcc
	v_cndmask_b32_e32 v13, v20, v13, vcc
	v_cmp_ge_i32_e32 vcc, v13, v15
	s_or_b64 s[2:3], vcc, s[2:3]
	s_andn2_b64 exec, exec, s[2:3]
	s_cbranch_execnz .LBB40_6
; %bb.7:
	s_or_b64 exec, exec, s[2:3]
.LBB40_8:
	s_or_b64 exec, exec, s[0:1]
	v_add_u32_e32 v12, v10, v12
	v_sub_u32_e32 v12, v12, v13
	v_lshl_add_u32 v14, v13, 1, v14
	v_lshl_add_u32 v15, v12, 1, v4
	ds_read_u16 v14, v14
	ds_read_u16 v15, v15
	v_add_u32_e32 v9, v13, v9
	v_cmp_le_i32_e64 s[0:1], v10, v9
	v_cmp_gt_i32_e32 vcc, v11, v12
	s_waitcnt lgkmcnt(0)
	v_cmp_lt_i16_e64 s[2:3], v15, v14
	s_or_b64 s[0:1], s[0:1], s[2:3]
	s_and_b64 vcc, vcc, s[0:1]
	v_cndmask_b32_e32 v9, v9, v12, vcc
	; wave barrier
	ds_write_b32 v7, v8
	v_lshl_add_u32 v8, v9, 2, v4
	v_and_b32_e32 v9, 0x78, v5
	v_min_i32_e32 v9, 64, v9
	v_cndmask_b32_e32 v10, v14, v15, vcc
	v_or_b32_e32 v11, 4, v9
	; wave barrier
	ds_read_b32 v8, v8
	; wave barrier
	ds_write_b16 v6, v10
	v_min_i32_e32 v10, 64, v11
	v_min_i32_e32 v11, 60, v11
	v_add_u32_e32 v11, 4, v11
	v_and_b32_e32 v12, 7, v5
	v_sub_u32_e32 v13, v11, v10
	v_sub_u32_e32 v15, v10, v9
	v_sub_u32_e32 v16, v12, v13
	v_cmp_ge_i32_e32 vcc, v12, v13
	v_cndmask_b32_e32 v13, 0, v16, vcc
	v_min_i32_e32 v15, v12, v15
	v_lshl_add_u32 v14, v9, 1, v4
	v_cmp_lt_i32_e32 vcc, v13, v15
	; wave barrier
	s_and_saveexec_b64 s[0:1], vcc
	s_cbranch_execz .LBB40_12
; %bb.9:
	v_lshlrev_b32_e32 v16, 1, v10
	v_lshlrev_b32_e32 v17, 1, v12
	v_add3_u32 v16, v4, v16, v17
	s_mov_b64 s[2:3], 0
.LBB40_10:                              ; =>This Inner Loop Header: Depth=1
	v_sub_u32_e32 v17, v15, v13
	v_lshrrev_b32_e32 v18, 31, v17
	v_add_u32_e32 v17, v17, v18
	v_ashrrev_i32_e32 v17, 1, v17
	v_add_u32_e32 v17, v17, v13
	v_not_b32_e32 v19, v17
	v_lshl_add_u32 v18, v17, 1, v14
	v_lshl_add_u32 v19, v19, 1, v16
	ds_read_u16 v18, v18
	ds_read_u16 v19, v19
	v_add_u32_e32 v20, 1, v17
	s_waitcnt lgkmcnt(0)
	v_cmp_lt_i16_e32 vcc, v19, v18
	v_cndmask_b32_e32 v15, v15, v17, vcc
	v_cndmask_b32_e32 v13, v20, v13, vcc
	v_cmp_ge_i32_e32 vcc, v13, v15
	s_or_b64 s[2:3], vcc, s[2:3]
	s_andn2_b64 exec, exec, s[2:3]
	s_cbranch_execnz .LBB40_10
; %bb.11:
	s_or_b64 exec, exec, s[2:3]
.LBB40_12:
	s_or_b64 exec, exec, s[0:1]
	v_add_u32_e32 v12, v10, v12
	v_sub_u32_e32 v12, v12, v13
	v_lshl_add_u32 v14, v13, 1, v14
	v_lshl_add_u32 v15, v12, 1, v4
	ds_read_u16 v14, v14
	ds_read_u16 v15, v15
	v_add_u32_e32 v9, v13, v9
	v_cmp_le_i32_e64 s[0:1], v10, v9
	v_cmp_gt_i32_e32 vcc, v11, v12
	s_waitcnt lgkmcnt(0)
	v_cmp_lt_i16_e64 s[2:3], v15, v14
	s_or_b64 s[0:1], s[0:1], s[2:3]
	s_and_b64 vcc, vcc, s[0:1]
	v_cndmask_b32_e32 v9, v9, v12, vcc
	; wave barrier
	ds_write_b32 v7, v8
	v_lshl_add_u32 v8, v9, 2, v4
	v_and_b32_e32 v9, 0x70, v5
	v_min_i32_e32 v9, 64, v9
	v_cndmask_b32_e32 v10, v14, v15, vcc
	v_or_b32_e32 v11, 8, v9
	; wave barrier
	ds_read_b32 v8, v8
	; wave barrier
	ds_write_b16 v6, v10
	v_min_i32_e32 v10, 64, v11
	v_min_i32_e32 v11, 56, v11
	v_add_u32_e32 v11, 8, v11
	v_and_b32_e32 v12, 15, v5
	v_sub_u32_e32 v13, v11, v10
	v_sub_u32_e32 v15, v10, v9
	v_sub_u32_e32 v16, v12, v13
	v_cmp_ge_i32_e32 vcc, v12, v13
	v_cndmask_b32_e32 v13, 0, v16, vcc
	v_min_i32_e32 v15, v12, v15
	v_lshl_add_u32 v14, v9, 1, v4
	v_cmp_lt_i32_e32 vcc, v13, v15
	; wave barrier
	s_and_saveexec_b64 s[0:1], vcc
	s_cbranch_execz .LBB40_16
; %bb.13:
	v_lshlrev_b32_e32 v16, 1, v10
	v_lshlrev_b32_e32 v17, 1, v12
	v_add3_u32 v16, v4, v16, v17
	s_mov_b64 s[2:3], 0
.LBB40_14:                              ; =>This Inner Loop Header: Depth=1
	v_sub_u32_e32 v17, v15, v13
	v_lshrrev_b32_e32 v18, 31, v17
	v_add_u32_e32 v17, v17, v18
	v_ashrrev_i32_e32 v17, 1, v17
	v_add_u32_e32 v17, v17, v13
	v_not_b32_e32 v19, v17
	v_lshl_add_u32 v18, v17, 1, v14
	v_lshl_add_u32 v19, v19, 1, v16
	ds_read_u16 v18, v18
	ds_read_u16 v19, v19
	v_add_u32_e32 v20, 1, v17
	s_waitcnt lgkmcnt(0)
	v_cmp_lt_i16_e32 vcc, v19, v18
	v_cndmask_b32_e32 v15, v15, v17, vcc
	v_cndmask_b32_e32 v13, v20, v13, vcc
	v_cmp_ge_i32_e32 vcc, v13, v15
	s_or_b64 s[2:3], vcc, s[2:3]
	s_andn2_b64 exec, exec, s[2:3]
	s_cbranch_execnz .LBB40_14
; %bb.15:
	s_or_b64 exec, exec, s[2:3]
.LBB40_16:
	s_or_b64 exec, exec, s[0:1]
	v_add_u32_e32 v12, v10, v12
	v_sub_u32_e32 v12, v12, v13
	v_lshl_add_u32 v14, v13, 1, v14
	v_lshl_add_u32 v15, v12, 1, v4
	ds_read_u16 v14, v14
	ds_read_u16 v15, v15
	v_add_u32_e32 v9, v13, v9
	v_cmp_le_i32_e64 s[0:1], v10, v9
	v_cmp_gt_i32_e32 vcc, v11, v12
	s_waitcnt lgkmcnt(0)
	v_cmp_lt_i16_e64 s[2:3], v15, v14
	s_or_b64 s[0:1], s[0:1], s[2:3]
	s_and_b64 vcc, vcc, s[0:1]
	v_cndmask_b32_e32 v9, v9, v12, vcc
	; wave barrier
	ds_write_b32 v7, v8
	v_lshl_add_u32 v8, v9, 2, v4
	v_and_b32_e32 v9, 0x60, v5
	v_min_i32_e32 v9, 64, v9
	v_cndmask_b32_e32 v10, v14, v15, vcc
	v_or_b32_e32 v11, 16, v9
	; wave barrier
	ds_read_b32 v8, v8
	; wave barrier
	ds_write_b16 v6, v10
	v_min_i32_e32 v10, 64, v11
	v_min_i32_e32 v11, 48, v11
	v_add_u32_e32 v11, 16, v11
	v_and_b32_e32 v12, 31, v5
	v_sub_u32_e32 v13, v11, v10
	v_sub_u32_e32 v15, v10, v9
	v_sub_u32_e32 v16, v12, v13
	v_cmp_ge_i32_e32 vcc, v12, v13
	v_cndmask_b32_e32 v13, 0, v16, vcc
	v_min_i32_e32 v15, v12, v15
	v_lshl_add_u32 v14, v9, 1, v4
	v_cmp_lt_i32_e32 vcc, v13, v15
	; wave barrier
	s_and_saveexec_b64 s[0:1], vcc
	s_cbranch_execz .LBB40_20
; %bb.17:
	v_lshlrev_b32_e32 v16, 1, v10
	v_lshlrev_b32_e32 v17, 1, v12
	v_add3_u32 v16, v4, v16, v17
	s_mov_b64 s[2:3], 0
.LBB40_18:                              ; =>This Inner Loop Header: Depth=1
	v_sub_u32_e32 v17, v15, v13
	v_lshrrev_b32_e32 v18, 31, v17
	v_add_u32_e32 v17, v17, v18
	v_ashrrev_i32_e32 v17, 1, v17
	v_add_u32_e32 v17, v17, v13
	v_not_b32_e32 v19, v17
	v_lshl_add_u32 v18, v17, 1, v14
	v_lshl_add_u32 v19, v19, 1, v16
	ds_read_u16 v18, v18
	ds_read_u16 v19, v19
	v_add_u32_e32 v20, 1, v17
	s_waitcnt lgkmcnt(0)
	v_cmp_lt_i16_e32 vcc, v19, v18
	v_cndmask_b32_e32 v15, v15, v17, vcc
	v_cndmask_b32_e32 v13, v20, v13, vcc
	v_cmp_ge_i32_e32 vcc, v13, v15
	s_or_b64 s[2:3], vcc, s[2:3]
	s_andn2_b64 exec, exec, s[2:3]
	s_cbranch_execnz .LBB40_18
; %bb.19:
	s_or_b64 exec, exec, s[2:3]
.LBB40_20:
	s_or_b64 exec, exec, s[0:1]
	v_add_u32_e32 v12, v10, v12
	v_sub_u32_e32 v12, v12, v13
	v_lshl_add_u32 v14, v13, 1, v14
	v_lshl_add_u32 v15, v12, 1, v4
	ds_read_u16 v14, v14
	ds_read_u16 v15, v15
	v_add_u32_e32 v9, v13, v9
	v_cmp_le_i32_e64 s[0:1], v10, v9
	v_cmp_gt_i32_e32 vcc, v11, v12
	s_waitcnt lgkmcnt(0)
	v_cmp_lt_i16_e64 s[2:3], v15, v14
	s_or_b64 s[0:1], s[0:1], s[2:3]
	s_and_b64 vcc, vcc, s[0:1]
	v_cndmask_b32_e32 v9, v9, v12, vcc
	v_cndmask_b32_e32 v10, v14, v15, vcc
	; wave barrier
	ds_write_b32 v7, v8
	v_lshl_add_u32 v8, v9, 2, v4
	; wave barrier
	ds_read_b32 v8, v8
	; wave barrier
	ds_write_b16 v6, v10
	v_and_b32_e32 v6, 64, v5
	v_and_b32_e32 v9, 63, v5
	v_or_b32_e32 v5, 32, v6
	v_min_i32_e32 v5, 64, v5
	v_sub_u32_e32 v10, 64, v5
	v_sub_u32_e32 v12, v5, v6
	;; [unrolled: 1-line block ×3, first 2 shown]
	v_cmp_ge_i32_e32 vcc, v9, v10
	v_cndmask_b32_e32 v10, 0, v13, vcc
	v_min_i32_e32 v12, v9, v12
	v_lshl_add_u32 v11, v6, 1, v4
	v_cmp_lt_i32_e32 vcc, v10, v12
	; wave barrier
	s_and_saveexec_b64 s[0:1], vcc
	s_cbranch_execz .LBB40_24
; %bb.21:
	v_lshlrev_b32_e32 v13, 1, v5
	v_lshlrev_b32_e32 v14, 1, v9
	v_add3_u32 v13, v4, v13, v14
	s_mov_b64 s[2:3], 0
.LBB40_22:                              ; =>This Inner Loop Header: Depth=1
	v_sub_u32_e32 v14, v12, v10
	v_lshrrev_b32_e32 v15, 31, v14
	v_add_u32_e32 v14, v14, v15
	v_ashrrev_i32_e32 v14, 1, v14
	v_add_u32_e32 v14, v14, v10
	v_not_b32_e32 v16, v14
	v_lshl_add_u32 v15, v14, 1, v11
	v_lshl_add_u32 v16, v16, 1, v13
	ds_read_u16 v15, v15
	ds_read_u16 v16, v16
	v_add_u32_e32 v17, 1, v14
	s_waitcnt lgkmcnt(0)
	v_cmp_lt_i16_e32 vcc, v16, v15
	v_cndmask_b32_e32 v12, v12, v14, vcc
	v_cndmask_b32_e32 v10, v17, v10, vcc
	v_cmp_ge_i32_e32 vcc, v10, v12
	s_or_b64 s[2:3], vcc, s[2:3]
	s_andn2_b64 exec, exec, s[2:3]
	s_cbranch_execnz .LBB40_22
; %bb.23:
	s_or_b64 exec, exec, s[2:3]
.LBB40_24:
	s_or_b64 exec, exec, s[0:1]
	v_add_u32_e32 v9, v5, v9
	v_sub_u32_e32 v9, v9, v10
	v_lshl_add_u32 v11, v10, 1, v11
	v_lshl_add_u32 v12, v9, 1, v4
	ds_read_u16 v11, v11
	ds_read_u16 v12, v12
	v_add_u32_e32 v6, v10, v6
	v_cmp_le_i32_e64 s[0:1], v5, v6
	v_cmp_gt_i32_e32 vcc, 64, v9
	s_waitcnt lgkmcnt(0)
	v_cmp_lt_i16_e64 s[2:3], v12, v11
	s_or_b64 s[0:1], s[0:1], s[2:3]
	s_and_b64 vcc, vcc, s[0:1]
	v_cndmask_b32_e32 v6, v6, v9, vcc
	v_lshl_add_u32 v4, v6, 2, v4
	; wave barrier
	ds_write_b32 v7, v8
	; wave barrier
	ds_read_b32 v4, v4
	v_cndmask_b32_e32 v5, v11, v12, vcc
	global_store_short v[0:1], v5, off
	s_waitcnt lgkmcnt(0)
	global_store_dword v[2:3], v4, off
	s_endpgm
	.section	.rodata,"a",@progbits
	.p2align	6, 0x0
	.amdhsa_kernel _Z21sort_keys_values_fullILj512ELj64ELj1ELb0EsiN10test_utils4lessEEvPT3_PT4_T5_
		.amdhsa_group_segment_fixed_size 2080
		.amdhsa_private_segment_fixed_size 0
		.amdhsa_kernarg_size 20
		.amdhsa_user_sgpr_count 6
		.amdhsa_user_sgpr_private_segment_buffer 1
		.amdhsa_user_sgpr_dispatch_ptr 0
		.amdhsa_user_sgpr_queue_ptr 0
		.amdhsa_user_sgpr_kernarg_segment_ptr 1
		.amdhsa_user_sgpr_dispatch_id 0
		.amdhsa_user_sgpr_flat_scratch_init 0
		.amdhsa_user_sgpr_kernarg_preload_length 0
		.amdhsa_user_sgpr_kernarg_preload_offset 0
		.amdhsa_user_sgpr_private_segment_size 0
		.amdhsa_uses_dynamic_stack 0
		.amdhsa_system_sgpr_private_segment_wavefront_offset 0
		.amdhsa_system_sgpr_workgroup_id_x 1
		.amdhsa_system_sgpr_workgroup_id_y 0
		.amdhsa_system_sgpr_workgroup_id_z 0
		.amdhsa_system_sgpr_workgroup_info 0
		.amdhsa_system_vgpr_workitem_id 0
		.amdhsa_next_free_vgpr 21
		.amdhsa_next_free_sgpr 8
		.amdhsa_accum_offset 24
		.amdhsa_reserve_vcc 1
		.amdhsa_reserve_flat_scratch 0
		.amdhsa_float_round_mode_32 0
		.amdhsa_float_round_mode_16_64 0
		.amdhsa_float_denorm_mode_32 3
		.amdhsa_float_denorm_mode_16_64 3
		.amdhsa_dx10_clamp 1
		.amdhsa_ieee_mode 1
		.amdhsa_fp16_overflow 0
		.amdhsa_tg_split 0
		.amdhsa_exception_fp_ieee_invalid_op 0
		.amdhsa_exception_fp_denorm_src 0
		.amdhsa_exception_fp_ieee_div_zero 0
		.amdhsa_exception_fp_ieee_overflow 0
		.amdhsa_exception_fp_ieee_underflow 0
		.amdhsa_exception_fp_ieee_inexact 0
		.amdhsa_exception_int_div_zero 0
	.end_amdhsa_kernel
	.section	.text._Z21sort_keys_values_fullILj512ELj64ELj1ELb0EsiN10test_utils4lessEEvPT3_PT4_T5_,"axG",@progbits,_Z21sort_keys_values_fullILj512ELj64ELj1ELb0EsiN10test_utils4lessEEvPT3_PT4_T5_,comdat
.Lfunc_end40:
	.size	_Z21sort_keys_values_fullILj512ELj64ELj1ELb0EsiN10test_utils4lessEEvPT3_PT4_T5_, .Lfunc_end40-_Z21sort_keys_values_fullILj512ELj64ELj1ELb0EsiN10test_utils4lessEEvPT3_PT4_T5_
                                        ; -- End function
	.section	.AMDGPU.csdata,"",@progbits
; Kernel info:
; codeLenInByte = 2032
; NumSgprs: 12
; NumVgprs: 21
; NumAgprs: 0
; TotalNumVgprs: 21
; ScratchSize: 0
; MemoryBound: 0
; FloatMode: 240
; IeeeMode: 1
; LDSByteSize: 2080 bytes/workgroup (compile time only)
; SGPRBlocks: 1
; VGPRBlocks: 2
; NumSGPRsForWavesPerEU: 12
; NumVGPRsForWavesPerEU: 21
; AccumOffset: 24
; Occupancy: 8
; WaveLimiterHint : 0
; COMPUTE_PGM_RSRC2:SCRATCH_EN: 0
; COMPUTE_PGM_RSRC2:USER_SGPR: 6
; COMPUTE_PGM_RSRC2:TRAP_HANDLER: 0
; COMPUTE_PGM_RSRC2:TGID_X_EN: 1
; COMPUTE_PGM_RSRC2:TGID_Y_EN: 0
; COMPUTE_PGM_RSRC2:TGID_Z_EN: 0
; COMPUTE_PGM_RSRC2:TIDIG_COMP_CNT: 0
; COMPUTE_PGM_RSRC3_GFX90A:ACCUM_OFFSET: 5
; COMPUTE_PGM_RSRC3_GFX90A:TG_SPLIT: 0
	.section	.text._Z21sort_keys_values_fullILj32ELj32ELj1ELb0EdiN10test_utils4lessEEvPT3_PT4_T5_,"axG",@progbits,_Z21sort_keys_values_fullILj32ELj32ELj1ELb0EdiN10test_utils4lessEEvPT3_PT4_T5_,comdat
	.protected	_Z21sort_keys_values_fullILj32ELj32ELj1ELb0EdiN10test_utils4lessEEvPT3_PT4_T5_ ; -- Begin function _Z21sort_keys_values_fullILj32ELj32ELj1ELb0EdiN10test_utils4lessEEvPT3_PT4_T5_
	.globl	_Z21sort_keys_values_fullILj32ELj32ELj1ELb0EdiN10test_utils4lessEEvPT3_PT4_T5_
	.p2align	8
	.type	_Z21sort_keys_values_fullILj32ELj32ELj1ELb0EdiN10test_utils4lessEEvPT3_PT4_T5_,@function
_Z21sort_keys_values_fullILj32ELj32ELj1ELb0EdiN10test_utils4lessEEvPT3_PT4_T5_: ; @_Z21sort_keys_values_fullILj32ELj32ELj1ELb0EdiN10test_utils4lessEEvPT3_PT4_T5_
; %bb.0:
	s_load_dwordx4 s[0:3], s[4:5], 0x0
	s_lshl_b32 s4, s6, 5
	s_mov_b32 s5, 0
	s_lshl_b64 s[6:7], s[4:5], 3
	v_lshlrev_b32_e32 v1, 3, v0
	s_waitcnt lgkmcnt(0)
	s_add_u32 s0, s0, s6
	s_addc_u32 s1, s1, s7
	s_lshl_b64 s[4:5], s[4:5], 2
	s_add_u32 s2, s2, s4
	s_addc_u32 s3, s3, s5
	v_lshlrev_b32_e32 v2, 2, v0
	global_load_dwordx2 v[14:15], v1, s[0:1]
	global_load_dword v7, v2, s[2:3]
	v_mbcnt_lo_u32_b32 v0, -1, 0
	v_mbcnt_hi_u32_b32 v6, -1, v0
	v_and_b32_e32 v10, 30, v6
	v_or_b32_e32 v9, 1, v10
	v_sub_u32_e32 v0, v10, v9
	v_and_b32_e32 v8, 1, v6
	v_add_u32_e32 v0, 2, v0
	v_sub_u32_e32 v3, v8, v0
	v_cmp_ge_i32_e32 vcc, v8, v0
	v_cndmask_b32_e32 v11, 0, v3, vcc
	v_mov_b32_e32 v3, s1
	v_add_co_u32_e32 v0, vcc, s0, v1
	v_addc_co_u32_e32 v1, vcc, 0, v3, vcc
	v_sub_u32_e32 v13, v9, v10
	v_mov_b32_e32 v3, s3
	v_add_co_u32_e32 v2, vcc, s2, v2
	v_and_b32_e32 v4, 31, v6
	v_addc_co_u32_e32 v3, vcc, 0, v3, vcc
	v_min_i32_e32 v13, v8, v13
	v_lshlrev_b32_e32 v5, 3, v4
	v_lshlrev_b32_e32 v12, 3, v10
	v_cmp_lt_i32_e32 vcc, v11, v13
	; wave barrier
	s_waitcnt vmcnt(1)
	ds_write_b64 v5, v[14:15]
	; wave barrier
	s_and_saveexec_b64 s[0:1], vcc
	s_cbranch_execz .LBB41_4
; %bb.1:
	v_lshlrev_b32_e32 v14, 3, v8
	v_add3_u32 v14, v12, v14, 8
	s_mov_b64 s[2:3], 0
.LBB41_2:                               ; =>This Inner Loop Header: Depth=1
	v_sub_u32_e32 v15, v13, v11
	v_lshrrev_b32_e32 v16, 31, v15
	v_add_u32_e32 v15, v15, v16
	v_ashrrev_i32_e32 v15, 1, v15
	v_add_u32_e32 v15, v15, v11
	v_not_b32_e32 v17, v15
	v_lshl_add_u32 v16, v15, 3, v12
	v_lshl_add_u32 v18, v17, 3, v14
	ds_read_b64 v[16:17], v16
	ds_read_b64 v[18:19], v18
	v_add_u32_e32 v20, 1, v15
	s_waitcnt lgkmcnt(0)
	v_cmp_lt_f64_e32 vcc, v[18:19], v[16:17]
	v_cndmask_b32_e32 v13, v13, v15, vcc
	v_cndmask_b32_e32 v11, v20, v11, vcc
	v_cmp_ge_i32_e32 vcc, v11, v13
	s_or_b64 s[2:3], vcc, s[2:3]
	s_andn2_b64 exec, exec, s[2:3]
	s_cbranch_execnz .LBB41_2
; %bb.3:
	s_or_b64 exec, exec, s[2:3]
.LBB41_4:
	s_or_b64 exec, exec, s[0:1]
	v_add_u32_e32 v16, v11, v10
	v_add_u32_e32 v10, v10, v8
	v_lshl_add_u32 v12, v11, 3, v12
	v_sub_u32_e32 v10, v10, v11
	v_lshlrev_b32_e32 v10, 3, v10
	ds_read_b64 v[12:13], v12
	ds_read_b64 v[14:15], v10 offset:8
	v_add_u32_e32 v8, v9, v8
	v_sub_u32_e32 v8, v8, v11
	v_cmp_lt_i32_e64 s[0:1], 0, v11
	v_cmp_ge_i32_e32 vcc, v9, v8
	s_waitcnt lgkmcnt(0)
	v_cmp_lt_f64_e64 s[2:3], v[14:15], v[12:13]
	s_or_b64 s[0:1], s[0:1], s[2:3]
	s_and_b64 vcc, vcc, s[0:1]
	v_lshlrev_b32_e32 v9, 2, v4
	v_cndmask_b32_e32 v10, v12, v14, vcc
	v_cndmask_b32_e32 v8, v16, v8, vcc
	v_sub_u32_e32 v12, v5, v9
	v_cndmask_b32_e32 v11, v13, v15, vcc
	; wave barrier
	s_waitcnt vmcnt(0)
	ds_write_b32 v12, v7
	v_lshlrev_b32_e32 v7, 2, v8
	v_and_b32_e32 v12, 28, v6
	; wave barrier
	ds_read_b32 v8, v7
	; wave barrier
	ds_write_b64 v5, v[10:11]
	v_or_b32_e32 v11, 2, v12
	v_add_u32_e32 v10, 4, v12
	v_and_b32_e32 v7, 3, v6
	v_sub_u32_e32 v13, v10, v11
	v_sub_u32_e32 v15, v11, v12
	;; [unrolled: 1-line block ×3, first 2 shown]
	v_cmp_ge_i32_e32 vcc, v7, v13
	v_cndmask_b32_e32 v13, 0, v16, vcc
	v_min_i32_e32 v15, v7, v15
	v_lshlrev_b32_e32 v14, 3, v12
	v_cmp_lt_i32_e32 vcc, v13, v15
	; wave barrier
	s_and_saveexec_b64 s[0:1], vcc
	s_cbranch_execz .LBB41_8
; %bb.5:
	v_lshlrev_b32_e32 v16, 3, v7
	v_add3_u32 v16, v14, v16, 16
	s_mov_b64 s[2:3], 0
.LBB41_6:                               ; =>This Inner Loop Header: Depth=1
	v_sub_u32_e32 v17, v15, v13
	v_lshrrev_b32_e32 v18, 31, v17
	v_add_u32_e32 v17, v17, v18
	v_ashrrev_i32_e32 v17, 1, v17
	v_add_u32_e32 v17, v17, v13
	v_not_b32_e32 v19, v17
	v_lshl_add_u32 v18, v17, 3, v14
	v_lshl_add_u32 v20, v19, 3, v16
	ds_read_b64 v[18:19], v18
	ds_read_b64 v[20:21], v20
	v_add_u32_e32 v22, 1, v17
	s_waitcnt lgkmcnt(0)
	v_cmp_lt_f64_e32 vcc, v[20:21], v[18:19]
	v_cndmask_b32_e32 v15, v15, v17, vcc
	v_cndmask_b32_e32 v13, v22, v13, vcc
	v_cmp_ge_i32_e32 vcc, v13, v15
	s_or_b64 s[2:3], vcc, s[2:3]
	s_andn2_b64 exec, exec, s[2:3]
	s_cbranch_execnz .LBB41_6
; %bb.7:
	s_or_b64 exec, exec, s[2:3]
.LBB41_8:
	s_or_b64 exec, exec, s[0:1]
	v_add_u32_e32 v18, v13, v12
	v_add_u32_e32 v12, v12, v7
	v_lshl_add_u32 v14, v13, 3, v14
	v_sub_u32_e32 v12, v12, v13
	v_lshlrev_b32_e32 v12, 3, v12
	ds_read_b64 v[14:15], v14
	ds_read_b64 v[16:17], v12 offset:16
	v_add_u32_e32 v7, v11, v7
	v_sub_u32_e32 v7, v7, v13
	v_cmp_lt_i32_e64 s[0:1], 1, v13
	v_cmp_gt_i32_e32 vcc, v10, v7
	s_waitcnt lgkmcnt(0)
	v_cmp_lt_f64_e64 s[2:3], v[16:17], v[14:15]
	s_or_b64 s[0:1], s[0:1], s[2:3]
	v_sub_u32_e32 v9, 0, v9
	s_and_b64 vcc, vcc, s[0:1]
	v_cndmask_b32_e32 v12, v18, v7, vcc
	v_add_u32_e32 v7, v5, v9
	v_cndmask_b32_e32 v11, v15, v17, vcc
	v_cndmask_b32_e32 v10, v14, v16, vcc
	; wave barrier
	ds_write_b32 v7, v8
	v_lshlrev_b32_e32 v8, 2, v12
	v_and_b32_e32 v12, 24, v6
	; wave barrier
	ds_read_b32 v8, v8
	; wave barrier
	ds_write_b64 v5, v[10:11]
	v_or_b32_e32 v11, 4, v12
	v_add_u32_e32 v10, 8, v12
	v_and_b32_e32 v9, 7, v6
	v_sub_u32_e32 v13, v10, v11
	v_sub_u32_e32 v15, v11, v12
	;; [unrolled: 1-line block ×3, first 2 shown]
	v_cmp_ge_i32_e32 vcc, v9, v13
	v_cndmask_b32_e32 v13, 0, v16, vcc
	v_min_i32_e32 v15, v9, v15
	v_lshlrev_b32_e32 v14, 3, v12
	v_cmp_lt_i32_e32 vcc, v13, v15
	; wave barrier
	s_and_saveexec_b64 s[0:1], vcc
	s_cbranch_execz .LBB41_12
; %bb.9:
	v_lshlrev_b32_e32 v16, 3, v9
	v_add3_u32 v16, v14, v16, 32
	s_mov_b64 s[2:3], 0
.LBB41_10:                              ; =>This Inner Loop Header: Depth=1
	v_sub_u32_e32 v17, v15, v13
	v_lshrrev_b32_e32 v18, 31, v17
	v_add_u32_e32 v17, v17, v18
	v_ashrrev_i32_e32 v17, 1, v17
	v_add_u32_e32 v17, v17, v13
	v_not_b32_e32 v19, v17
	v_lshl_add_u32 v18, v17, 3, v14
	v_lshl_add_u32 v20, v19, 3, v16
	ds_read_b64 v[18:19], v18
	ds_read_b64 v[20:21], v20
	v_add_u32_e32 v22, 1, v17
	s_waitcnt lgkmcnt(0)
	v_cmp_lt_f64_e32 vcc, v[20:21], v[18:19]
	v_cndmask_b32_e32 v15, v15, v17, vcc
	v_cndmask_b32_e32 v13, v22, v13, vcc
	v_cmp_ge_i32_e32 vcc, v13, v15
	s_or_b64 s[2:3], vcc, s[2:3]
	s_andn2_b64 exec, exec, s[2:3]
	s_cbranch_execnz .LBB41_10
; %bb.11:
	s_or_b64 exec, exec, s[2:3]
.LBB41_12:
	s_or_b64 exec, exec, s[0:1]
	v_add_u32_e32 v18, v13, v12
	v_add_u32_e32 v12, v12, v9
	v_lshl_add_u32 v14, v13, 3, v14
	v_sub_u32_e32 v12, v12, v13
	v_lshlrev_b32_e32 v12, 3, v12
	ds_read_b64 v[14:15], v14
	ds_read_b64 v[16:17], v12 offset:32
	v_add_u32_e32 v9, v11, v9
	v_sub_u32_e32 v9, v9, v13
	v_cmp_lt_i32_e64 s[0:1], 3, v13
	v_cmp_gt_i32_e32 vcc, v10, v9
	s_waitcnt lgkmcnt(0)
	v_cmp_lt_f64_e64 s[2:3], v[16:17], v[14:15]
	s_or_b64 s[0:1], s[0:1], s[2:3]
	s_and_b64 vcc, vcc, s[0:1]
	v_cndmask_b32_e32 v9, v18, v9, vcc
	v_cndmask_b32_e32 v11, v15, v17, vcc
	;; [unrolled: 1-line block ×3, first 2 shown]
	; wave barrier
	ds_write_b32 v7, v8
	v_lshlrev_b32_e32 v8, 2, v9
	; wave barrier
	ds_read_b32 v8, v8
	; wave barrier
	ds_write_b64 v5, v[10:11]
	v_and_b32_e32 v11, 16, v6
	v_or_b32_e32 v10, 8, v11
	v_add_u32_e32 v9, 16, v11
	v_and_b32_e32 v6, 15, v6
	v_sub_u32_e32 v12, v9, v10
	v_sub_u32_e32 v14, v10, v11
	;; [unrolled: 1-line block ×3, first 2 shown]
	v_cmp_ge_i32_e32 vcc, v6, v12
	v_cndmask_b32_e32 v12, 0, v15, vcc
	v_min_i32_e32 v14, v6, v14
	v_lshlrev_b32_e32 v13, 3, v11
	v_cmp_lt_i32_e32 vcc, v12, v14
	; wave barrier
	s_and_saveexec_b64 s[0:1], vcc
	s_cbranch_execz .LBB41_16
; %bb.13:
	v_lshlrev_b32_e32 v15, 3, v6
	v_add3_u32 v15, v13, v15, 64
	s_mov_b64 s[2:3], 0
.LBB41_14:                              ; =>This Inner Loop Header: Depth=1
	v_sub_u32_e32 v16, v14, v12
	v_lshrrev_b32_e32 v17, 31, v16
	v_add_u32_e32 v16, v16, v17
	v_ashrrev_i32_e32 v16, 1, v16
	v_add_u32_e32 v20, v16, v12
	v_not_b32_e32 v17, v20
	v_lshl_add_u32 v16, v20, 3, v13
	v_lshl_add_u32 v18, v17, 3, v15
	ds_read_b64 v[16:17], v16
	ds_read_b64 v[18:19], v18
	v_add_u32_e32 v21, 1, v20
	s_waitcnt lgkmcnt(0)
	v_cmp_lt_f64_e32 vcc, v[18:19], v[16:17]
	v_cndmask_b32_e32 v14, v14, v20, vcc
	v_cndmask_b32_e32 v12, v21, v12, vcc
	v_cmp_ge_i32_e32 vcc, v12, v14
	s_or_b64 s[2:3], vcc, s[2:3]
	s_andn2_b64 exec, exec, s[2:3]
	s_cbranch_execnz .LBB41_14
; %bb.15:
	s_or_b64 exec, exec, s[2:3]
.LBB41_16:
	s_or_b64 exec, exec, s[0:1]
	v_add_u32_e32 v18, v12, v11
	v_add_u32_e32 v11, v11, v6
	v_lshl_add_u32 v13, v12, 3, v13
	v_sub_u32_e32 v11, v11, v12
	v_lshlrev_b32_e32 v11, 3, v11
	ds_read_b64 v[14:15], v13
	ds_read_b64 v[16:17], v11 offset:64
	v_add_u32_e32 v6, v10, v6
	v_sub_u32_e32 v6, v6, v12
	v_cmp_lt_i32_e64 s[0:1], 7, v12
	v_cmp_gt_i32_e32 vcc, v9, v6
	s_waitcnt lgkmcnt(0)
	v_cmp_lt_f64_e64 s[2:3], v[16:17], v[14:15]
	s_or_b64 s[0:1], s[0:1], s[2:3]
	s_and_b64 vcc, vcc, s[0:1]
	v_cndmask_b32_e32 v6, v18, v6, vcc
	v_lshlrev_b32_e32 v6, 2, v6
	; wave barrier
	ds_write_b32 v7, v8
	; wave barrier
	ds_read_b32 v6, v6
	v_sub_u32_e64 v8, v4, 16 clamp
	v_min_i32_e32 v9, 16, v4
	v_cndmask_b32_e32 v11, v15, v17, vcc
	v_cndmask_b32_e32 v10, v14, v16, vcc
	v_cmp_lt_u32_e32 vcc, v8, v9
	; wave barrier
	ds_write_b64 v5, v[10:11]
	; wave barrier
	s_and_saveexec_b64 s[0:1], vcc
	s_cbranch_execz .LBB41_20
; %bb.17:
	v_add_u32_e32 v5, 0x80, v5
	s_mov_b64 s[2:3], 0
.LBB41_18:                              ; =>This Inner Loop Header: Depth=1
	v_sub_u32_e32 v10, v9, v8
	v_lshrrev_b32_e32 v11, 31, v10
	v_add_u32_e32 v10, v10, v11
	v_ashrrev_i32_e32 v10, 1, v10
	v_add_u32_e32 v14, v10, v8
	v_not_b32_e32 v11, v14
	v_lshlrev_b32_e32 v10, 3, v14
	v_lshl_add_u32 v12, v11, 3, v5
	ds_read_b64 v[10:11], v10
	ds_read_b64 v[12:13], v12
	v_add_u32_e32 v15, 1, v14
	s_waitcnt lgkmcnt(0)
	v_cmp_lt_f64_e32 vcc, v[12:13], v[10:11]
	v_cndmask_b32_e32 v9, v9, v14, vcc
	v_cndmask_b32_e32 v8, v15, v8, vcc
	v_cmp_ge_i32_e32 vcc, v8, v9
	s_or_b64 s[2:3], vcc, s[2:3]
	s_andn2_b64 exec, exec, s[2:3]
	s_cbranch_execnz .LBB41_18
; %bb.19:
	s_or_b64 exec, exec, s[2:3]
.LBB41_20:
	s_or_b64 exec, exec, s[0:1]
	v_sub_u32_e32 v9, v4, v8
	v_lshlrev_b32_e32 v4, 3, v8
	v_lshlrev_b32_e32 v10, 3, v9
	ds_read_b64 v[4:5], v4
	ds_read_b64 v[10:11], v10 offset:128
	v_add_u32_e32 v9, 16, v9
	v_cmp_lt_i32_e64 s[0:1], 15, v8
	v_cmp_gt_i32_e32 vcc, 32, v9
	s_waitcnt lgkmcnt(0)
	v_cmp_lt_f64_e64 s[2:3], v[10:11], v[4:5]
	s_or_b64 s[0:1], s[0:1], s[2:3]
	s_and_b64 vcc, vcc, s[0:1]
	v_cndmask_b32_e32 v8, v8, v9, vcc
	; wave barrier
	ds_write_b32 v7, v6
	v_lshlrev_b32_e32 v6, 2, v8
	; wave barrier
	ds_read_b32 v6, v6
	v_cndmask_b32_e32 v5, v5, v11, vcc
	v_cndmask_b32_e32 v4, v4, v10, vcc
	global_store_dwordx2 v[0:1], v[4:5], off
	s_waitcnt lgkmcnt(0)
	global_store_dword v[2:3], v6, off
	s_endpgm
	.section	.rodata,"a",@progbits
	.p2align	6, 0x0
	.amdhsa_kernel _Z21sort_keys_values_fullILj32ELj32ELj1ELb0EdiN10test_utils4lessEEvPT3_PT4_T5_
		.amdhsa_group_segment_fixed_size 264
		.amdhsa_private_segment_fixed_size 0
		.amdhsa_kernarg_size 20
		.amdhsa_user_sgpr_count 6
		.amdhsa_user_sgpr_private_segment_buffer 1
		.amdhsa_user_sgpr_dispatch_ptr 0
		.amdhsa_user_sgpr_queue_ptr 0
		.amdhsa_user_sgpr_kernarg_segment_ptr 1
		.amdhsa_user_sgpr_dispatch_id 0
		.amdhsa_user_sgpr_flat_scratch_init 0
		.amdhsa_user_sgpr_kernarg_preload_length 0
		.amdhsa_user_sgpr_kernarg_preload_offset 0
		.amdhsa_user_sgpr_private_segment_size 0
		.amdhsa_uses_dynamic_stack 0
		.amdhsa_system_sgpr_private_segment_wavefront_offset 0
		.amdhsa_system_sgpr_workgroup_id_x 1
		.amdhsa_system_sgpr_workgroup_id_y 0
		.amdhsa_system_sgpr_workgroup_id_z 0
		.amdhsa_system_sgpr_workgroup_info 0
		.amdhsa_system_vgpr_workitem_id 0
		.amdhsa_next_free_vgpr 23
		.amdhsa_next_free_sgpr 8
		.amdhsa_accum_offset 24
		.amdhsa_reserve_vcc 1
		.amdhsa_reserve_flat_scratch 0
		.amdhsa_float_round_mode_32 0
		.amdhsa_float_round_mode_16_64 0
		.amdhsa_float_denorm_mode_32 3
		.amdhsa_float_denorm_mode_16_64 3
		.amdhsa_dx10_clamp 1
		.amdhsa_ieee_mode 1
		.amdhsa_fp16_overflow 0
		.amdhsa_tg_split 0
		.amdhsa_exception_fp_ieee_invalid_op 0
		.amdhsa_exception_fp_denorm_src 0
		.amdhsa_exception_fp_ieee_div_zero 0
		.amdhsa_exception_fp_ieee_overflow 0
		.amdhsa_exception_fp_ieee_underflow 0
		.amdhsa_exception_fp_ieee_inexact 0
		.amdhsa_exception_int_div_zero 0
	.end_amdhsa_kernel
	.section	.text._Z21sort_keys_values_fullILj32ELj32ELj1ELb0EdiN10test_utils4lessEEvPT3_PT4_T5_,"axG",@progbits,_Z21sort_keys_values_fullILj32ELj32ELj1ELb0EdiN10test_utils4lessEEvPT3_PT4_T5_,comdat
.Lfunc_end41:
	.size	_Z21sort_keys_values_fullILj32ELj32ELj1ELb0EdiN10test_utils4lessEEvPT3_PT4_T5_, .Lfunc_end41-_Z21sort_keys_values_fullILj32ELj32ELj1ELb0EdiN10test_utils4lessEEvPT3_PT4_T5_
                                        ; -- End function
	.section	.AMDGPU.csdata,"",@progbits
; Kernel info:
; codeLenInByte = 1568
; NumSgprs: 12
; NumVgprs: 23
; NumAgprs: 0
; TotalNumVgprs: 23
; ScratchSize: 0
; MemoryBound: 0
; FloatMode: 240
; IeeeMode: 1
; LDSByteSize: 264 bytes/workgroup (compile time only)
; SGPRBlocks: 1
; VGPRBlocks: 2
; NumSGPRsForWavesPerEU: 12
; NumVGPRsForWavesPerEU: 23
; AccumOffset: 24
; Occupancy: 8
; WaveLimiterHint : 0
; COMPUTE_PGM_RSRC2:SCRATCH_EN: 0
; COMPUTE_PGM_RSRC2:USER_SGPR: 6
; COMPUTE_PGM_RSRC2:TRAP_HANDLER: 0
; COMPUTE_PGM_RSRC2:TGID_X_EN: 1
; COMPUTE_PGM_RSRC2:TGID_Y_EN: 0
; COMPUTE_PGM_RSRC2:TGID_Z_EN: 0
; COMPUTE_PGM_RSRC2:TIDIG_COMP_CNT: 0
; COMPUTE_PGM_RSRC3_GFX90A:ACCUM_OFFSET: 5
; COMPUTE_PGM_RSRC3_GFX90A:TG_SPLIT: 0
	.section	.text._Z21sort_keys_values_fullILj64ELj16ELj1ELb0EfcN10test_utils4lessEEvPT3_PT4_T5_,"axG",@progbits,_Z21sort_keys_values_fullILj64ELj16ELj1ELb0EfcN10test_utils4lessEEvPT3_PT4_T5_,comdat
	.protected	_Z21sort_keys_values_fullILj64ELj16ELj1ELb0EfcN10test_utils4lessEEvPT3_PT4_T5_ ; -- Begin function _Z21sort_keys_values_fullILj64ELj16ELj1ELb0EfcN10test_utils4lessEEvPT3_PT4_T5_
	.globl	_Z21sort_keys_values_fullILj64ELj16ELj1ELb0EfcN10test_utils4lessEEvPT3_PT4_T5_
	.p2align	8
	.type	_Z21sort_keys_values_fullILj64ELj16ELj1ELb0EfcN10test_utils4lessEEvPT3_PT4_T5_,@function
_Z21sort_keys_values_fullILj64ELj16ELj1ELb0EfcN10test_utils4lessEEvPT3_PT4_T5_: ; @_Z21sort_keys_values_fullILj64ELj16ELj1ELb0EfcN10test_utils4lessEEvPT3_PT4_T5_
; %bb.0:
	s_load_dwordx4 s[0:3], s[4:5], 0x0
	s_lshl_b32 s4, s6, 6
	s_mov_b32 s5, 0
	s_lshl_b64 s[6:7], s[4:5], 2
	v_lshlrev_b32_e32 v1, 2, v0
	s_waitcnt lgkmcnt(0)
	s_add_u32 s0, s0, s6
	s_addc_u32 s1, s1, s7
	global_load_dword v14, v1, s[0:1]
	s_add_u32 s2, s2, s4
	s_addc_u32 s3, s3, 0
	global_load_ubyte v9, v0, s[2:3]
	v_mbcnt_lo_u32_b32 v2, -1, 0
	v_mbcnt_hi_u32_b32 v8, -1, v2
	v_and_b32_e32 v4, 15, v8
	v_and_b32_e32 v11, 14, v8
	s_movk_i32 s4, 0x44
	v_lshrrev_b32_e32 v6, 4, v0
	v_lshlrev_b32_e32 v2, 2, v4
	v_or_b32_e32 v10, 1, v11
	v_mad_u32_u24 v5, v6, s4, v2
	v_sub_u32_e32 v2, v11, v10
	v_and_b32_e32 v7, 1, v8
	v_lshlrev_b32_e32 v3, 2, v11
	v_add_u32_e32 v2, 2, v2
	v_mad_u32_u24 v13, v6, s4, v3
	v_sub_u32_e32 v3, v7, v2
	v_cmp_ge_i32_e32 vcc, v7, v2
	v_cndmask_b32_e32 v12, 0, v3, vcc
	v_mov_b32_e32 v3, s1
	v_add_co_u32_e32 v2, vcc, s0, v1
	v_addc_co_u32_e32 v3, vcc, 0, v3, vcc
	v_sub_u32_e32 v15, v10, v11
	v_mov_b32_e32 v1, s3
	v_add_co_u32_e32 v0, vcc, s2, v0
	; wave barrier
	v_addc_co_u32_e32 v1, vcc, 0, v1, vcc
	s_waitcnt vmcnt(1)
	ds_write_b32 v5, v14
	v_min_i32_e32 v14, v7, v15
	v_cmp_lt_i32_e32 vcc, v12, v14
	; wave barrier
	s_and_saveexec_b64 s[0:1], vcc
	s_cbranch_execz .LBB42_4
; %bb.1:
	v_lshlrev_b32_e32 v15, 2, v7
	v_add3_u32 v15, v13, v15, 4
	s_mov_b64 s[2:3], 0
.LBB42_2:                               ; =>This Inner Loop Header: Depth=1
	v_sub_u32_e32 v16, v14, v12
	v_lshrrev_b32_e32 v17, 31, v16
	v_add_u32_e32 v16, v16, v17
	v_ashrrev_i32_e32 v16, 1, v16
	v_add_u32_e32 v16, v16, v12
	v_not_b32_e32 v18, v16
	v_lshl_add_u32 v17, v16, 2, v13
	v_lshl_add_u32 v18, v18, 2, v15
	ds_read_b32 v17, v17
	ds_read_b32 v18, v18
	v_add_u32_e32 v19, 1, v16
	s_waitcnt lgkmcnt(0)
	v_cmp_lt_f32_e32 vcc, v18, v17
	v_cndmask_b32_e32 v14, v14, v16, vcc
	v_cndmask_b32_e32 v12, v19, v12, vcc
	v_cmp_ge_i32_e32 vcc, v12, v14
	s_or_b64 s[2:3], vcc, s[2:3]
	s_andn2_b64 exec, exec, s[2:3]
	s_cbranch_execnz .LBB42_2
; %bb.3:
	s_or_b64 exec, exec, s[2:3]
.LBB42_4:
	s_or_b64 exec, exec, s[0:1]
	v_add_u32_e32 v14, v12, v11
	v_add_u32_e32 v11, v11, v7
	v_mul_u32_u24_e32 v6, 0x44, v6
	v_sub_u32_e32 v11, v11, v12
	v_lshl_add_u32 v13, v12, 2, v13
	v_lshl_add_u32 v11, v11, 2, v6
	ds_read_b32 v13, v13
	ds_read_b32 v11, v11 offset:4
	v_add_u32_e32 v7, v10, v7
	v_sub_u32_e32 v7, v7, v12
	v_cmp_lt_i32_e64 s[0:1], 0, v12
	v_cmp_ge_i32_e32 vcc, v10, v7
	s_waitcnt lgkmcnt(0)
	v_cmp_lt_f32_e64 s[2:3], v11, v13
	s_or_b64 s[0:1], s[0:1], s[2:3]
	s_and_b64 vcc, vcc, s[0:1]
	v_cndmask_b32_e32 v10, v13, v11, vcc
	v_cndmask_b32_e32 v11, v14, v7, vcc
	v_add_u32_e32 v7, v6, v4
	; wave barrier
	s_waitcnt vmcnt(0)
	ds_write_b8 v7, v9
	v_add_u32_e32 v9, v6, v11
	v_and_b32_e32 v13, 12, v8
	; wave barrier
	ds_read_u8 v9, v9
	v_or_b32_e32 v12, 2, v13
	v_add_u32_e32 v11, 4, v13
	; wave barrier
	ds_write_b32 v5, v10
	v_and_b32_e32 v10, 3, v8
	v_sub_u32_e32 v14, v11, v12
	v_sub_u32_e32 v16, v12, v13
	;; [unrolled: 1-line block ×3, first 2 shown]
	v_cmp_ge_i32_e32 vcc, v10, v14
	v_cndmask_b32_e32 v14, 0, v17, vcc
	v_min_i32_e32 v16, v10, v16
	v_lshl_add_u32 v15, v13, 2, v6
	v_cmp_lt_i32_e32 vcc, v14, v16
	; wave barrier
	s_and_saveexec_b64 s[0:1], vcc
	s_cbranch_execz .LBB42_8
; %bb.5:
	v_lshlrev_b32_e32 v17, 2, v10
	v_add3_u32 v17, v15, v17, 8
	s_mov_b64 s[2:3], 0
.LBB42_6:                               ; =>This Inner Loop Header: Depth=1
	v_sub_u32_e32 v18, v16, v14
	v_lshrrev_b32_e32 v19, 31, v18
	v_add_u32_e32 v18, v18, v19
	v_ashrrev_i32_e32 v18, 1, v18
	v_add_u32_e32 v18, v18, v14
	v_not_b32_e32 v20, v18
	v_lshl_add_u32 v19, v18, 2, v15
	v_lshl_add_u32 v20, v20, 2, v17
	ds_read_b32 v19, v19
	ds_read_b32 v20, v20
	v_add_u32_e32 v21, 1, v18
	s_waitcnt lgkmcnt(0)
	v_cmp_lt_f32_e32 vcc, v20, v19
	v_cndmask_b32_e32 v16, v16, v18, vcc
	v_cndmask_b32_e32 v14, v21, v14, vcc
	v_cmp_ge_i32_e32 vcc, v14, v16
	s_or_b64 s[2:3], vcc, s[2:3]
	s_andn2_b64 exec, exec, s[2:3]
	s_cbranch_execnz .LBB42_6
; %bb.7:
	s_or_b64 exec, exec, s[2:3]
.LBB42_8:
	s_or_b64 exec, exec, s[0:1]
	v_add_u32_e32 v16, v14, v13
	v_add_u32_e32 v13, v13, v10
	v_sub_u32_e32 v13, v13, v14
	v_lshl_add_u32 v15, v14, 2, v15
	v_lshl_add_u32 v13, v13, 2, v6
	ds_read_b32 v15, v15
	ds_read_b32 v13, v13 offset:8
	v_add_u32_e32 v10, v12, v10
	v_sub_u32_e32 v10, v10, v14
	v_cmp_lt_i32_e64 s[0:1], 1, v14
	v_cmp_gt_i32_e32 vcc, v11, v10
	s_waitcnt lgkmcnt(0)
	v_cmp_lt_f32_e64 s[2:3], v13, v15
	s_or_b64 s[0:1], s[0:1], s[2:3]
	s_and_b64 vcc, vcc, s[0:1]
	v_cndmask_b32_e32 v10, v16, v10, vcc
	v_cndmask_b32_e32 v11, v15, v13, vcc
	; wave barrier
	ds_write_b8 v7, v9
	v_add_u32_e32 v9, v6, v10
	v_and_b32_e32 v12, 8, v8
	; wave barrier
	ds_read_u8 v9, v9
	; wave barrier
	ds_write_b32 v5, v11
	v_or_b32_e32 v11, 4, v12
	v_add_u32_e32 v10, 8, v12
	v_and_b32_e32 v8, 7, v8
	v_sub_u32_e32 v13, v10, v11
	v_sub_u32_e32 v15, v11, v12
	;; [unrolled: 1-line block ×3, first 2 shown]
	v_cmp_ge_i32_e32 vcc, v8, v13
	v_cndmask_b32_e32 v13, 0, v16, vcc
	v_min_i32_e32 v15, v8, v15
	v_lshl_add_u32 v14, v12, 2, v6
	v_cmp_lt_i32_e32 vcc, v13, v15
	; wave barrier
	s_and_saveexec_b64 s[0:1], vcc
	s_cbranch_execz .LBB42_12
; %bb.9:
	v_lshlrev_b32_e32 v16, 2, v8
	v_add3_u32 v16, v14, v16, 16
	s_mov_b64 s[2:3], 0
.LBB42_10:                              ; =>This Inner Loop Header: Depth=1
	v_sub_u32_e32 v17, v15, v13
	v_lshrrev_b32_e32 v18, 31, v17
	v_add_u32_e32 v17, v17, v18
	v_ashrrev_i32_e32 v17, 1, v17
	v_add_u32_e32 v17, v17, v13
	v_not_b32_e32 v19, v17
	v_lshl_add_u32 v18, v17, 2, v14
	v_lshl_add_u32 v19, v19, 2, v16
	ds_read_b32 v18, v18
	ds_read_b32 v19, v19
	v_add_u32_e32 v20, 1, v17
	s_waitcnt lgkmcnt(0)
	v_cmp_lt_f32_e32 vcc, v19, v18
	v_cndmask_b32_e32 v15, v15, v17, vcc
	v_cndmask_b32_e32 v13, v20, v13, vcc
	v_cmp_ge_i32_e32 vcc, v13, v15
	s_or_b64 s[2:3], vcc, s[2:3]
	s_andn2_b64 exec, exec, s[2:3]
	s_cbranch_execnz .LBB42_10
; %bb.11:
	s_or_b64 exec, exec, s[2:3]
.LBB42_12:
	s_or_b64 exec, exec, s[0:1]
	v_add_u32_e32 v15, v13, v12
	v_add_u32_e32 v12, v12, v8
	v_sub_u32_e32 v12, v12, v13
	v_lshl_add_u32 v14, v13, 2, v14
	v_lshl_add_u32 v12, v12, 2, v6
	ds_read_b32 v14, v14
	ds_read_b32 v12, v12 offset:16
	v_add_u32_e32 v8, v11, v8
	v_sub_u32_e32 v8, v8, v13
	v_cmp_lt_i32_e64 s[0:1], 3, v13
	v_cmp_gt_i32_e32 vcc, v10, v8
	s_waitcnt lgkmcnt(0)
	v_cmp_lt_f32_e64 s[2:3], v12, v14
	s_or_b64 s[0:1], s[0:1], s[2:3]
	s_and_b64 vcc, vcc, s[0:1]
	v_cndmask_b32_e32 v8, v15, v8, vcc
	v_add_u32_e32 v8, v6, v8
	; wave barrier
	ds_write_b8 v7, v9
	; wave barrier
	ds_read_u8 v8, v8
	v_cndmask_b32_e32 v10, v14, v12, vcc
	; wave barrier
	ds_write_b32 v5, v10
	v_sub_u32_e64 v9, v4, 8 clamp
	v_min_i32_e32 v10, 8, v4
	v_cmp_lt_u32_e32 vcc, v9, v10
	; wave barrier
	s_and_saveexec_b64 s[0:1], vcc
	s_cbranch_execz .LBB42_16
; %bb.13:
	v_add_u32_e32 v5, 32, v5
	s_mov_b64 s[2:3], 0
.LBB42_14:                              ; =>This Inner Loop Header: Depth=1
	v_sub_u32_e32 v11, v10, v9
	v_lshrrev_b32_e32 v12, 31, v11
	v_add_u32_e32 v11, v11, v12
	v_ashrrev_i32_e32 v11, 1, v11
	v_add_u32_e32 v11, v11, v9
	v_not_b32_e32 v13, v11
	v_lshl_add_u32 v12, v11, 2, v6
	v_lshl_add_u32 v13, v13, 2, v5
	ds_read_b32 v12, v12
	ds_read_b32 v13, v13
	v_add_u32_e32 v14, 1, v11
	s_waitcnt lgkmcnt(0)
	v_cmp_lt_f32_e32 vcc, v13, v12
	v_cndmask_b32_e32 v10, v10, v11, vcc
	v_cndmask_b32_e32 v9, v14, v9, vcc
	v_cmp_ge_i32_e32 vcc, v9, v10
	s_or_b64 s[2:3], vcc, s[2:3]
	s_andn2_b64 exec, exec, s[2:3]
	s_cbranch_execnz .LBB42_14
; %bb.15:
	s_or_b64 exec, exec, s[2:3]
.LBB42_16:
	s_or_b64 exec, exec, s[0:1]
	v_sub_u32_e32 v4, v4, v9
	v_lshl_add_u32 v5, v9, 2, v6
	v_lshl_add_u32 v10, v4, 2, v6
	ds_read_b32 v5, v5
	ds_read_b32 v10, v10 offset:32
	v_add_u32_e32 v4, 8, v4
	v_cmp_lt_i32_e64 s[0:1], 7, v9
	v_cmp_gt_i32_e32 vcc, 16, v4
	s_waitcnt lgkmcnt(0)
	v_cmp_lt_f32_e64 s[2:3], v10, v5
	s_or_b64 s[0:1], s[0:1], s[2:3]
	s_and_b64 vcc, vcc, s[0:1]
	v_cndmask_b32_e32 v4, v9, v4, vcc
	v_add_u32_e32 v4, v6, v4
	; wave barrier
	ds_write_b8 v7, v8
	; wave barrier
	ds_read_u8 v4, v4
	v_cndmask_b32_e32 v5, v5, v10, vcc
	global_store_dword v[2:3], v5, off
	s_waitcnt lgkmcnt(0)
	global_store_byte v[0:1], v4, off
	s_endpgm
	.section	.rodata,"a",@progbits
	.p2align	6, 0x0
	.amdhsa_kernel _Z21sort_keys_values_fullILj64ELj16ELj1ELb0EfcN10test_utils4lessEEvPT3_PT4_T5_
		.amdhsa_group_segment_fixed_size 272
		.amdhsa_private_segment_fixed_size 0
		.amdhsa_kernarg_size 20
		.amdhsa_user_sgpr_count 6
		.amdhsa_user_sgpr_private_segment_buffer 1
		.amdhsa_user_sgpr_dispatch_ptr 0
		.amdhsa_user_sgpr_queue_ptr 0
		.amdhsa_user_sgpr_kernarg_segment_ptr 1
		.amdhsa_user_sgpr_dispatch_id 0
		.amdhsa_user_sgpr_flat_scratch_init 0
		.amdhsa_user_sgpr_kernarg_preload_length 0
		.amdhsa_user_sgpr_kernarg_preload_offset 0
		.amdhsa_user_sgpr_private_segment_size 0
		.amdhsa_uses_dynamic_stack 0
		.amdhsa_system_sgpr_private_segment_wavefront_offset 0
		.amdhsa_system_sgpr_workgroup_id_x 1
		.amdhsa_system_sgpr_workgroup_id_y 0
		.amdhsa_system_sgpr_workgroup_id_z 0
		.amdhsa_system_sgpr_workgroup_info 0
		.amdhsa_system_vgpr_workitem_id 0
		.amdhsa_next_free_vgpr 22
		.amdhsa_next_free_sgpr 8
		.amdhsa_accum_offset 24
		.amdhsa_reserve_vcc 1
		.amdhsa_reserve_flat_scratch 0
		.amdhsa_float_round_mode_32 0
		.amdhsa_float_round_mode_16_64 0
		.amdhsa_float_denorm_mode_32 3
		.amdhsa_float_denorm_mode_16_64 3
		.amdhsa_dx10_clamp 1
		.amdhsa_ieee_mode 1
		.amdhsa_fp16_overflow 0
		.amdhsa_tg_split 0
		.amdhsa_exception_fp_ieee_invalid_op 0
		.amdhsa_exception_fp_denorm_src 0
		.amdhsa_exception_fp_ieee_div_zero 0
		.amdhsa_exception_fp_ieee_overflow 0
		.amdhsa_exception_fp_ieee_underflow 0
		.amdhsa_exception_fp_ieee_inexact 0
		.amdhsa_exception_int_div_zero 0
	.end_amdhsa_kernel
	.section	.text._Z21sort_keys_values_fullILj64ELj16ELj1ELb0EfcN10test_utils4lessEEvPT3_PT4_T5_,"axG",@progbits,_Z21sort_keys_values_fullILj64ELj16ELj1ELb0EfcN10test_utils4lessEEvPT3_PT4_T5_,comdat
.Lfunc_end42:
	.size	_Z21sort_keys_values_fullILj64ELj16ELj1ELb0EfcN10test_utils4lessEEvPT3_PT4_T5_, .Lfunc_end42-_Z21sort_keys_values_fullILj64ELj16ELj1ELb0EfcN10test_utils4lessEEvPT3_PT4_T5_
                                        ; -- End function
	.section	.AMDGPU.csdata,"",@progbits
; Kernel info:
; codeLenInByte = 1300
; NumSgprs: 12
; NumVgprs: 22
; NumAgprs: 0
; TotalNumVgprs: 22
; ScratchSize: 0
; MemoryBound: 0
; FloatMode: 240
; IeeeMode: 1
; LDSByteSize: 272 bytes/workgroup (compile time only)
; SGPRBlocks: 1
; VGPRBlocks: 2
; NumSGPRsForWavesPerEU: 12
; NumVGPRsForWavesPerEU: 22
; AccumOffset: 24
; Occupancy: 8
; WaveLimiterHint : 0
; COMPUTE_PGM_RSRC2:SCRATCH_EN: 0
; COMPUTE_PGM_RSRC2:USER_SGPR: 6
; COMPUTE_PGM_RSRC2:TRAP_HANDLER: 0
; COMPUTE_PGM_RSRC2:TGID_X_EN: 1
; COMPUTE_PGM_RSRC2:TGID_Y_EN: 0
; COMPUTE_PGM_RSRC2:TGID_Z_EN: 0
; COMPUTE_PGM_RSRC2:TIDIG_COMP_CNT: 0
; COMPUTE_PGM_RSRC3_GFX90A:ACCUM_OFFSET: 5
; COMPUTE_PGM_RSRC3_GFX90A:TG_SPLIT: 0
	.section	.text._Z21sort_keys_values_fullILj256ELj2ELj1ELb0EjiN10test_utils4lessEEvPT3_PT4_T5_,"axG",@progbits,_Z21sort_keys_values_fullILj256ELj2ELj1ELb0EjiN10test_utils4lessEEvPT3_PT4_T5_,comdat
	.protected	_Z21sort_keys_values_fullILj256ELj2ELj1ELb0EjiN10test_utils4lessEEvPT3_PT4_T5_ ; -- Begin function _Z21sort_keys_values_fullILj256ELj2ELj1ELb0EjiN10test_utils4lessEEvPT3_PT4_T5_
	.globl	_Z21sort_keys_values_fullILj256ELj2ELj1ELb0EjiN10test_utils4lessEEvPT3_PT4_T5_
	.p2align	8
	.type	_Z21sort_keys_values_fullILj256ELj2ELj1ELb0EjiN10test_utils4lessEEvPT3_PT4_T5_,@function
_Z21sort_keys_values_fullILj256ELj2ELj1ELb0EjiN10test_utils4lessEEvPT3_PT4_T5_: ; @_Z21sort_keys_values_fullILj256ELj2ELj1ELb0EjiN10test_utils4lessEEvPT3_PT4_T5_
; %bb.0:
	s_load_dwordx4 s[0:3], s[4:5], 0x0
	s_lshl_b32 s4, s6, 8
	s_mov_b32 s5, 0
	s_lshl_b64 s[4:5], s[4:5], 2
	v_lshlrev_b32_e32 v2, 2, v0
	s_waitcnt lgkmcnt(0)
	s_add_u32 s0, s0, s4
	s_addc_u32 s1, s1, s5
	s_add_u32 s2, s2, s4
	s_addc_u32 s3, s3, s5
	global_load_dword v9, v2, s[0:1]
	global_load_dword v4, v2, s[2:3]
	v_mbcnt_lo_u32_b32 v1, -1, 0
	v_mbcnt_hi_u32_b32 v1, -1, v1
	v_and_b32_e32 v8, 1, v1
	v_lshrrev_b32_e32 v0, 1, v0
	v_lshlrev_b32_e32 v1, 2, v8
	v_mul_u32_u24_e32 v5, 12, v0
	v_mad_u32_u24 v7, v0, 12, v1
	v_mov_b32_e32 v1, s1
	v_add_co_u32_e32 v0, vcc, s0, v2
	v_addc_co_u32_e32 v1, vcc, 0, v1, vcc
	v_mov_b32_e32 v3, s3
	v_add_co_u32_e32 v2, vcc, s2, v2
	v_addc_co_u32_e32 v3, vcc, 0, v3, vcc
	v_mov_b32_e32 v6, 0
	v_cmp_eq_u32_e32 vcc, 1, v8
	; wave barrier
	s_waitcnt vmcnt(1)
	ds_write_b32 v7, v9
	; wave barrier
	s_and_saveexec_b64 s[0:1], vcc
	s_cbranch_execz .LBB43_4
; %bb.1:
	v_add_u32_e32 v9, 4, v7
	s_mov_b64 s[2:3], 0
	v_mov_b32_e32 v6, 0
	v_mov_b32_e32 v10, 1
.LBB43_2:                               ; =>This Inner Loop Header: Depth=1
	v_sub_u32_e32 v11, v10, v6
	v_lshrrev_b32_e32 v12, 31, v11
	v_add_u32_e32 v11, v11, v12
	v_ashrrev_i32_e32 v11, 1, v11
	v_add_u32_e32 v11, v11, v6
	v_not_b32_e32 v13, v11
	v_lshl_add_u32 v12, v11, 2, v5
	v_lshl_add_u32 v13, v13, 2, v9
	ds_read_b32 v12, v12
	ds_read_b32 v13, v13
	v_add_u32_e32 v14, 1, v11
	s_waitcnt lgkmcnt(0)
	v_cmp_lt_u32_e32 vcc, v13, v12
	v_cndmask_b32_e32 v10, v10, v11, vcc
	v_cndmask_b32_e32 v6, v14, v6, vcc
	v_cmp_ge_i32_e32 vcc, v6, v10
	s_or_b64 s[2:3], vcc, s[2:3]
	s_andn2_b64 exec, exec, s[2:3]
	s_cbranch_execnz .LBB43_2
; %bb.3:
	s_or_b64 exec, exec, s[2:3]
.LBB43_4:
	s_or_b64 exec, exec, s[0:1]
	v_sub_u32_e32 v8, v8, v6
	v_lshl_add_u32 v9, v6, 2, v5
	v_lshl_add_u32 v10, v8, 2, v5
	ds_read_b32 v9, v9
	ds_read_b32 v10, v10 offset:4
	v_add_u32_e32 v8, 1, v8
	v_cmp_lt_i32_e64 s[0:1], 0, v6
	v_cmp_gt_i32_e32 vcc, 2, v8
	s_waitcnt lgkmcnt(0)
	v_cmp_lt_u32_e64 s[2:3], v10, v9
	s_or_b64 s[0:1], s[0:1], s[2:3]
	s_and_b64 vcc, vcc, s[0:1]
	v_cndmask_b32_e32 v6, v6, v8, vcc
	; wave barrier
	s_waitcnt vmcnt(0)
	ds_write_b32 v7, v4
	v_lshl_add_u32 v4, v6, 2, v5
	; wave barrier
	ds_read_b32 v4, v4
	v_cndmask_b32_e32 v9, v9, v10, vcc
	global_store_dword v[0:1], v9, off
	s_waitcnt lgkmcnt(0)
	global_store_dword v[2:3], v4, off
	s_endpgm
	.section	.rodata,"a",@progbits
	.p2align	6, 0x0
	.amdhsa_kernel _Z21sort_keys_values_fullILj256ELj2ELj1ELb0EjiN10test_utils4lessEEvPT3_PT4_T5_
		.amdhsa_group_segment_fixed_size 1536
		.amdhsa_private_segment_fixed_size 0
		.amdhsa_kernarg_size 20
		.amdhsa_user_sgpr_count 6
		.amdhsa_user_sgpr_private_segment_buffer 1
		.amdhsa_user_sgpr_dispatch_ptr 0
		.amdhsa_user_sgpr_queue_ptr 0
		.amdhsa_user_sgpr_kernarg_segment_ptr 1
		.amdhsa_user_sgpr_dispatch_id 0
		.amdhsa_user_sgpr_flat_scratch_init 0
		.amdhsa_user_sgpr_kernarg_preload_length 0
		.amdhsa_user_sgpr_kernarg_preload_offset 0
		.amdhsa_user_sgpr_private_segment_size 0
		.amdhsa_uses_dynamic_stack 0
		.amdhsa_system_sgpr_private_segment_wavefront_offset 0
		.amdhsa_system_sgpr_workgroup_id_x 1
		.amdhsa_system_sgpr_workgroup_id_y 0
		.amdhsa_system_sgpr_workgroup_id_z 0
		.amdhsa_system_sgpr_workgroup_info 0
		.amdhsa_system_vgpr_workitem_id 0
		.amdhsa_next_free_vgpr 15
		.amdhsa_next_free_sgpr 7
		.amdhsa_accum_offset 16
		.amdhsa_reserve_vcc 1
		.amdhsa_reserve_flat_scratch 0
		.amdhsa_float_round_mode_32 0
		.amdhsa_float_round_mode_16_64 0
		.amdhsa_float_denorm_mode_32 3
		.amdhsa_float_denorm_mode_16_64 3
		.amdhsa_dx10_clamp 1
		.amdhsa_ieee_mode 1
		.amdhsa_fp16_overflow 0
		.amdhsa_tg_split 0
		.amdhsa_exception_fp_ieee_invalid_op 0
		.amdhsa_exception_fp_denorm_src 0
		.amdhsa_exception_fp_ieee_div_zero 0
		.amdhsa_exception_fp_ieee_overflow 0
		.amdhsa_exception_fp_ieee_underflow 0
		.amdhsa_exception_fp_ieee_inexact 0
		.amdhsa_exception_int_div_zero 0
	.end_amdhsa_kernel
	.section	.text._Z21sort_keys_values_fullILj256ELj2ELj1ELb0EjiN10test_utils4lessEEvPT3_PT4_T5_,"axG",@progbits,_Z21sort_keys_values_fullILj256ELj2ELj1ELb0EjiN10test_utils4lessEEvPT3_PT4_T5_,comdat
.Lfunc_end43:
	.size	_Z21sort_keys_values_fullILj256ELj2ELj1ELb0EjiN10test_utils4lessEEvPT3_PT4_T5_, .Lfunc_end43-_Z21sort_keys_values_fullILj256ELj2ELj1ELb0EjiN10test_utils4lessEEvPT3_PT4_T5_
                                        ; -- End function
	.section	.AMDGPU.csdata,"",@progbits
; Kernel info:
; codeLenInByte = 400
; NumSgprs: 11
; NumVgprs: 15
; NumAgprs: 0
; TotalNumVgprs: 15
; ScratchSize: 0
; MemoryBound: 0
; FloatMode: 240
; IeeeMode: 1
; LDSByteSize: 1536 bytes/workgroup (compile time only)
; SGPRBlocks: 1
; VGPRBlocks: 1
; NumSGPRsForWavesPerEU: 11
; NumVGPRsForWavesPerEU: 15
; AccumOffset: 16
; Occupancy: 8
; WaveLimiterHint : 0
; COMPUTE_PGM_RSRC2:SCRATCH_EN: 0
; COMPUTE_PGM_RSRC2:USER_SGPR: 6
; COMPUTE_PGM_RSRC2:TRAP_HANDLER: 0
; COMPUTE_PGM_RSRC2:TGID_X_EN: 1
; COMPUTE_PGM_RSRC2:TGID_Y_EN: 0
; COMPUTE_PGM_RSRC2:TGID_Z_EN: 0
; COMPUTE_PGM_RSRC2:TIDIG_COMP_CNT: 0
; COMPUTE_PGM_RSRC3_GFX90A:ACCUM_OFFSET: 3
; COMPUTE_PGM_RSRC3_GFX90A:TG_SPLIT: 0
	.text
	.p2alignl 6, 3212836864
	.fill 256, 4, 3212836864
	.protected	_ZN9sort_lastIN10test_utils4lessENS0_16custom_test_typeIfEEE5valueE ; @_ZN9sort_lastIN10test_utils4lessENS0_16custom_test_typeIfEEE5valueE
	.type	_ZN9sort_lastIN10test_utils4lessENS0_16custom_test_typeIfEEE5valueE,@object
	.section	.rodata._ZN9sort_lastIN10test_utils4lessENS0_16custom_test_typeIfEEE5valueE,"aG",@progbits,_ZN9sort_lastIN10test_utils4lessENS0_16custom_test_typeIfEEE5valueE,comdat
	.weak	_ZN9sort_lastIN10test_utils4lessENS0_16custom_test_typeIfEEE5valueE
	.p2align	2, 0x0
_ZN9sort_lastIN10test_utils4lessENS0_16custom_test_typeIfEEE5valueE:
	.long	0x7f7fffff                      ; float 3.40282347E+38
	.long	0x7f7fffff                      ; float 3.40282347E+38
	.size	_ZN9sort_lastIN10test_utils4lessENS0_16custom_test_typeIfEEE5valueE, 8

	.type	__hip_cuid_369a41411e8ed03f,@object ; @__hip_cuid_369a41411e8ed03f
	.section	.bss,"aw",@nobits
	.globl	__hip_cuid_369a41411e8ed03f
__hip_cuid_369a41411e8ed03f:
	.byte	0                               ; 0x0
	.size	__hip_cuid_369a41411e8ed03f, 1

	.ident	"AMD clang version 19.0.0git (https://github.com/RadeonOpenCompute/llvm-project roc-6.4.0 25133 c7fe45cf4b819c5991fe208aaa96edf142730f1d)"
	.section	".note.GNU-stack","",@progbits
	.addrsig
	.addrsig_sym __hip_cuid_369a41411e8ed03f
	.amdgpu_metadata
---
amdhsa.kernels:
  - .agpr_count:     0
    .args:
      - .address_space:  global
        .offset:         0
        .size:           8
        .value_kind:     global_buffer
      - .address_space:  global
        .offset:         8
        .size:           8
        .value_kind:     global_buffer
      - .offset:         16
        .size:           1
        .value_kind:     by_value
    .group_segment_fixed_size: 7200
    .kernarg_segment_align: 8
    .kernarg_segment_size: 20
    .language:       OpenCL C
    .language_version:
      - 2
      - 0
    .max_flat_workgroup_size: 256
    .name:           _Z19sort_keys_segmentedILj256ELj32ELj7ELb0EiN10test_utils7greaterEEvPT3_PKjT4_
    .private_segment_fixed_size: 0
    .sgpr_count:     32
    .sgpr_spill_count: 0
    .symbol:         _Z19sort_keys_segmentedILj256ELj32ELj7ELb0EiN10test_utils7greaterEEvPT3_PKjT4_.kd
    .uniform_work_group_size: 1
    .uses_dynamic_stack: false
    .vgpr_count:     26
    .vgpr_spill_count: 0
    .wavefront_size: 64
  - .agpr_count:     0
    .args:
      - .address_space:  global
        .offset:         0
        .size:           8
        .value_kind:     global_buffer
      - .address_space:  global
        .offset:         8
        .size:           8
        .value_kind:     global_buffer
      - .offset:         16
        .size:           1
        .value_kind:     by_value
    .group_segment_fixed_size: 8448
    .kernarg_segment_align: 8
    .kernarg_segment_size: 20
    .language:       OpenCL C
    .language_version:
      - 2
      - 0
    .max_flat_workgroup_size: 256
    .name:           _Z19sort_keys_segmentedILj256ELj8ELj4ELb1ExN10test_utils4lessEEvPT3_PKjT4_
    .private_segment_fixed_size: 0
    .sgpr_count:     20
    .sgpr_spill_count: 0
    .symbol:         _Z19sort_keys_segmentedILj256ELj8ELj4ELb1ExN10test_utils4lessEEvPT3_PKjT4_.kd
    .uniform_work_group_size: 1
    .uses_dynamic_stack: false
    .vgpr_count:     27
    .vgpr_spill_count: 0
    .wavefront_size: 64
  - .agpr_count:     0
    .args:
      - .address_space:  global
        .offset:         0
        .size:           8
        .value_kind:     global_buffer
      - .address_space:  global
        .offset:         8
        .size:           8
        .value_kind:     global_buffer
      - .offset:         16
        .size:           1
        .value_kind:     by_value
    .group_segment_fixed_size: 16448
    .kernarg_segment_align: 8
    .kernarg_segment_size: 20
    .language:       OpenCL C
    .language_version:
      - 2
      - 0
    .max_flat_workgroup_size: 256
    .name:           _Z19sort_keys_segmentedILj256ELj32ELj8ELb0EN10test_utils16custom_test_typeIfEENS0_4lessEEvPT3_PKjT4_
    .private_segment_fixed_size: 0
    .sgpr_count:     44
    .sgpr_spill_count: 0
    .symbol:         _Z19sort_keys_segmentedILj256ELj32ELj8ELb0EN10test_utils16custom_test_typeIfEENS0_4lessEEvPT3_PKjT4_.kd
    .uniform_work_group_size: 1
    .uses_dynamic_stack: false
    .vgpr_count:     44
    .vgpr_spill_count: 0
    .wavefront_size: 64
  - .agpr_count:     0
    .args:
      - .address_space:  global
        .offset:         0
        .size:           8
        .value_kind:     global_buffer
      - .address_space:  global
        .offset:         8
        .size:           8
        .value_kind:     global_buffer
      - .offset:         16
        .size:           1
        .value_kind:     by_value
    .group_segment_fixed_size: 8256
    .kernarg_segment_align: 8
    .kernarg_segment_size: 20
    .language:       OpenCL C
    .language_version:
      - 2
      - 0
    .max_flat_workgroup_size: 256
    .name:           _Z19sort_keys_segmentedILj256ELj32ELj4ELb0EN10test_utils16custom_test_typeIfEENS0_4lessEEvPT3_PKjT4_
    .private_segment_fixed_size: 0
    .sgpr_count:     26
    .sgpr_spill_count: 0
    .symbol:         _Z19sort_keys_segmentedILj256ELj32ELj4ELb0EN10test_utils16custom_test_typeIfEENS0_4lessEEvPT3_PKjT4_.kd
    .uniform_work_group_size: 1
    .uses_dynamic_stack: false
    .vgpr_count:     28
    .vgpr_spill_count: 0
    .wavefront_size: 64
  - .agpr_count:     0
    .args:
      - .address_space:  global
        .offset:         0
        .size:           8
        .value_kind:     global_buffer
      - .address_space:  global
        .offset:         8
        .size:           8
        .value_kind:     global_buffer
      - .offset:         16
        .size:           1
        .value_kind:     by_value
    .group_segment_fixed_size: 4160
    .kernarg_segment_align: 8
    .kernarg_segment_size: 20
    .language:       OpenCL C
    .language_version:
      - 2
      - 0
    .max_flat_workgroup_size: 256
    .name:           _Z19sort_keys_segmentedILj256ELj32ELj2ELb0EN10test_utils16custom_test_typeIfEENS0_4lessEEvPT3_PKjT4_
    .private_segment_fixed_size: 0
    .sgpr_count:     20
    .sgpr_spill_count: 0
    .symbol:         _Z19sort_keys_segmentedILj256ELj32ELj2ELb0EN10test_utils16custom_test_typeIfEENS0_4lessEEvPT3_PKjT4_.kd
    .uniform_work_group_size: 1
    .uses_dynamic_stack: false
    .vgpr_count:     20
    .vgpr_spill_count: 0
    .wavefront_size: 64
  - .agpr_count:     0
    .args:
      - .address_space:  global
        .offset:         0
        .size:           8
        .value_kind:     global_buffer
      - .address_space:  global
        .offset:         8
        .size:           8
        .value_kind:     global_buffer
      - .offset:         16
        .size:           1
        .value_kind:     by_value
    .group_segment_fixed_size: 66
    .kernarg_segment_align: 8
    .kernarg_segment_size: 20
    .language:       OpenCL C
    .language_version:
      - 2
      - 0
    .max_flat_workgroup_size: 32
    .name:           _Z19sort_keys_segmentedILj32ELj32ELj1ELb0E12hip_bfloat16N10test_utils4lessEEvPT3_PKjT4_
    .private_segment_fixed_size: 0
    .sgpr_count:     13
    .sgpr_spill_count: 0
    .symbol:         _Z19sort_keys_segmentedILj32ELj32ELj1ELb0E12hip_bfloat16N10test_utils4lessEEvPT3_PKjT4_.kd
    .uniform_work_group_size: 1
    .uses_dynamic_stack: false
    .vgpr_count:     17
    .vgpr_spill_count: 0
    .wavefront_size: 64
  - .agpr_count:     0
    .args:
      - .address_space:  global
        .offset:         0
        .size:           8
        .value_kind:     global_buffer
      - .address_space:  global
        .offset:         8
        .size:           8
        .value_kind:     global_buffer
      - .offset:         16
        .size:           1
        .value_kind:     by_value
    .group_segment_fixed_size: 66
    .kernarg_segment_align: 8
    .kernarg_segment_size: 20
    .language:       OpenCL C
    .language_version:
      - 2
      - 0
    .max_flat_workgroup_size: 32
    .name:           _Z19sort_keys_segmentedILj32ELj32ELj1ELb0E6__halfN10test_utils4lessEEvPT3_PKjT4_
    .private_segment_fixed_size: 0
    .sgpr_count:     13
    .sgpr_spill_count: 0
    .symbol:         _Z19sort_keys_segmentedILj32ELj32ELj1ELb0E6__halfN10test_utils4lessEEvPT3_PKjT4_.kd
    .uniform_work_group_size: 1
    .uses_dynamic_stack: false
    .vgpr_count:     17
    .vgpr_spill_count: 0
    .wavefront_size: 64
  - .agpr_count:     0
    .args:
      - .address_space:  global
        .offset:         0
        .size:           8
        .value_kind:     global_buffer
      - .address_space:  global
        .offset:         8
        .size:           8
        .value_kind:     global_buffer
      - .offset:         16
        .size:           1
        .value_kind:     by_value
    .group_segment_fixed_size: 1040
    .kernarg_segment_align: 8
    .kernarg_segment_size: 20
    .language:       OpenCL C
    .language_version:
      - 2
      - 0
    .max_flat_workgroup_size: 512
    .name:           _Z19sort_keys_segmentedILj512ELj64ELj1ELb0EsN10test_utils4lessEEvPT3_PKjT4_
    .private_segment_fixed_size: 0
    .sgpr_count:     11
    .sgpr_spill_count: 0
    .symbol:         _Z19sort_keys_segmentedILj512ELj64ELj1ELb0EsN10test_utils4lessEEvPT3_PKjT4_.kd
    .uniform_work_group_size: 1
    .uses_dynamic_stack: false
    .vgpr_count:     19
    .vgpr_spill_count: 0
    .wavefront_size: 64
  - .agpr_count:     0
    .args:
      - .address_space:  global
        .offset:         0
        .size:           8
        .value_kind:     global_buffer
      - .address_space:  global
        .offset:         8
        .size:           8
        .value_kind:     global_buffer
      - .offset:         16
        .size:           1
        .value_kind:     by_value
    .group_segment_fixed_size: 264
    .kernarg_segment_align: 8
    .kernarg_segment_size: 20
    .language:       OpenCL C
    .language_version:
      - 2
      - 0
    .max_flat_workgroup_size: 32
    .name:           _Z19sort_keys_segmentedILj32ELj32ELj1ELb0EdN10test_utils4lessEEvPT3_PKjT4_
    .private_segment_fixed_size: 0
    .sgpr_count:     13
    .sgpr_spill_count: 0
    .symbol:         _Z19sort_keys_segmentedILj32ELj32ELj1ELb0EdN10test_utils4lessEEvPT3_PKjT4_.kd
    .uniform_work_group_size: 1
    .uses_dynamic_stack: false
    .vgpr_count:     19
    .vgpr_spill_count: 0
    .wavefront_size: 64
  - .agpr_count:     0
    .args:
      - .address_space:  global
        .offset:         0
        .size:           8
        .value_kind:     global_buffer
      - .address_space:  global
        .offset:         8
        .size:           8
        .value_kind:     global_buffer
      - .offset:         16
        .size:           1
        .value_kind:     by_value
    .group_segment_fixed_size: 272
    .kernarg_segment_align: 8
    .kernarg_segment_size: 20
    .language:       OpenCL C
    .language_version:
      - 2
      - 0
    .max_flat_workgroup_size: 64
    .name:           _Z19sort_keys_segmentedILj64ELj16ELj1ELb0EfN10test_utils4lessEEvPT3_PKjT4_
    .private_segment_fixed_size: 0
    .sgpr_count:     11
    .sgpr_spill_count: 0
    .symbol:         _Z19sort_keys_segmentedILj64ELj16ELj1ELb0EfN10test_utils4lessEEvPT3_PKjT4_.kd
    .uniform_work_group_size: 1
    .uses_dynamic_stack: false
    .vgpr_count:     20
    .vgpr_spill_count: 0
    .wavefront_size: 64
  - .agpr_count:     0
    .args:
      - .address_space:  global
        .offset:         0
        .size:           8
        .value_kind:     global_buffer
      - .address_space:  global
        .offset:         8
        .size:           8
        .value_kind:     global_buffer
      - .offset:         16
        .size:           1
        .value_kind:     by_value
    .group_segment_fixed_size: 1536
    .kernarg_segment_align: 8
    .kernarg_segment_size: 20
    .language:       OpenCL C
    .language_version:
      - 2
      - 0
    .max_flat_workgroup_size: 256
    .name:           _Z19sort_keys_segmentedILj256ELj2ELj1ELb0EjN10test_utils4lessEEvPT3_PKjT4_
    .private_segment_fixed_size: 0
    .sgpr_count:     11
    .sgpr_spill_count: 0
    .symbol:         _Z19sort_keys_segmentedILj256ELj2ELj1ELb0EjN10test_utils4lessEEvPT3_PKjT4_.kd
    .uniform_work_group_size: 1
    .uses_dynamic_stack: false
    .vgpr_count:     16
    .vgpr_spill_count: 0
    .wavefront_size: 64
  - .agpr_count:     0
    .args:
      - .address_space:  global
        .offset:         0
        .size:           8
        .value_kind:     global_buffer
      - .address_space:  global
        .offset:         8
        .size:           8
        .value_kind:     global_buffer
      - .address_space:  global
        .offset:         16
        .size:           8
        .value_kind:     global_buffer
      - .offset:         24
        .size:           1
        .value_kind:     by_value
    .group_segment_fixed_size: 7200
    .kernarg_segment_align: 8
    .kernarg_segment_size: 28
    .language:       OpenCL C
    .language_version:
      - 2
      - 0
    .max_flat_workgroup_size: 256
    .name:           _Z26sort_keys_values_segmentedILj256ELj32ELj7ELb0EiN10test_utils16custom_test_typeIsEENS0_7greaterEEvPT3_PT4_PKjT5_
    .private_segment_fixed_size: 0
    .sgpr_count:     34
    .sgpr_spill_count: 0
    .symbol:         _Z26sort_keys_values_segmentedILj256ELj32ELj7ELb0EiN10test_utils16custom_test_typeIsEENS0_7greaterEEvPT3_PT4_PKjT5_.kd
    .uniform_work_group_size: 1
    .uses_dynamic_stack: false
    .vgpr_count:     47
    .vgpr_spill_count: 0
    .wavefront_size: 64
  - .agpr_count:     0
    .args:
      - .address_space:  global
        .offset:         0
        .size:           8
        .value_kind:     global_buffer
      - .address_space:  global
        .offset:         8
        .size:           8
        .value_kind:     global_buffer
      - .address_space:  global
        .offset:         16
        .size:           8
        .value_kind:     global_buffer
      - .offset:         24
        .size:           1
        .value_kind:     by_value
    .group_segment_fixed_size: 8448
    .kernarg_segment_align: 8
    .kernarg_segment_size: 28
    .language:       OpenCL C
    .language_version:
      - 2
      - 0
    .max_flat_workgroup_size: 256
    .name:           _Z26sort_keys_values_segmentedILj256ELj8ELj4ELb1ExsN10test_utils4lessEEvPT3_PT4_PKjT5_
    .private_segment_fixed_size: 0
    .sgpr_count:     22
    .sgpr_spill_count: 0
    .symbol:         _Z26sort_keys_values_segmentedILj256ELj8ELj4ELb1ExsN10test_utils4lessEEvPT3_PT4_PKjT5_.kd
    .uniform_work_group_size: 1
    .uses_dynamic_stack: false
    .vgpr_count:     37
    .vgpr_spill_count: 0
    .wavefront_size: 64
  - .agpr_count:     0
    .args:
      - .address_space:  global
        .offset:         0
        .size:           8
        .value_kind:     global_buffer
      - .address_space:  global
        .offset:         8
        .size:           8
        .value_kind:     global_buffer
      - .address_space:  global
        .offset:         16
        .size:           8
        .value_kind:     global_buffer
      - .offset:         24
        .size:           1
        .value_kind:     by_value
    .group_segment_fixed_size: 16448
    .kernarg_segment_align: 8
    .kernarg_segment_size: 28
    .language:       OpenCL C
    .language_version:
      - 2
      - 0
    .max_flat_workgroup_size: 256
    .name:           _Z26sort_keys_values_segmentedILj256ELj32ELj8ELb0EN10test_utils16custom_test_typeIfEEiNS0_4lessEEvPT3_PT4_PKjT5_
    .private_segment_fixed_size: 0
    .sgpr_count:     44
    .sgpr_spill_count: 0
    .symbol:         _Z26sort_keys_values_segmentedILj256ELj32ELj8ELb0EN10test_utils16custom_test_typeIfEEiNS0_4lessEEvPT3_PT4_PKjT5_.kd
    .uniform_work_group_size: 1
    .uses_dynamic_stack: false
    .vgpr_count:     106
    .vgpr_spill_count: 0
    .wavefront_size: 64
  - .agpr_count:     0
    .args:
      - .address_space:  global
        .offset:         0
        .size:           8
        .value_kind:     global_buffer
      - .address_space:  global
        .offset:         8
        .size:           8
        .value_kind:     global_buffer
      - .address_space:  global
        .offset:         16
        .size:           8
        .value_kind:     global_buffer
      - .offset:         24
        .size:           1
        .value_kind:     by_value
    .group_segment_fixed_size: 8256
    .kernarg_segment_align: 8
    .kernarg_segment_size: 28
    .language:       OpenCL C
    .language_version:
      - 2
      - 0
    .max_flat_workgroup_size: 256
    .name:           _Z26sort_keys_values_segmentedILj256ELj32ELj4ELb0EN10test_utils16custom_test_typeIfEEiNS0_4lessEEvPT3_PT4_PKjT5_
    .private_segment_fixed_size: 0
    .sgpr_count:     26
    .sgpr_spill_count: 0
    .symbol:         _Z26sort_keys_values_segmentedILj256ELj32ELj4ELb0EN10test_utils16custom_test_typeIfEEiNS0_4lessEEvPT3_PT4_PKjT5_.kd
    .uniform_work_group_size: 1
    .uses_dynamic_stack: false
    .vgpr_count:     41
    .vgpr_spill_count: 0
    .wavefront_size: 64
  - .agpr_count:     0
    .args:
      - .address_space:  global
        .offset:         0
        .size:           8
        .value_kind:     global_buffer
      - .address_space:  global
        .offset:         8
        .size:           8
        .value_kind:     global_buffer
      - .address_space:  global
        .offset:         16
        .size:           8
        .value_kind:     global_buffer
      - .offset:         24
        .size:           1
        .value_kind:     by_value
    .group_segment_fixed_size: 4160
    .kernarg_segment_align: 8
    .kernarg_segment_size: 28
    .language:       OpenCL C
    .language_version:
      - 2
      - 0
    .max_flat_workgroup_size: 256
    .name:           _Z26sort_keys_values_segmentedILj256ELj32ELj2ELb0EN10test_utils16custom_test_typeIfEEyNS0_4lessEEvPT3_PT4_PKjT5_
    .private_segment_fixed_size: 0
    .sgpr_count:     20
    .sgpr_spill_count: 0
    .symbol:         _Z26sort_keys_values_segmentedILj256ELj32ELj2ELb0EN10test_utils16custom_test_typeIfEEyNS0_4lessEEvPT3_PT4_PKjT5_.kd
    .uniform_work_group_size: 1
    .uses_dynamic_stack: false
    .vgpr_count:     27
    .vgpr_spill_count: 0
    .wavefront_size: 64
  - .agpr_count:     0
    .args:
      - .address_space:  global
        .offset:         0
        .size:           8
        .value_kind:     global_buffer
      - .address_space:  global
        .offset:         8
        .size:           8
        .value_kind:     global_buffer
      - .address_space:  global
        .offset:         16
        .size:           8
        .value_kind:     global_buffer
      - .offset:         24
        .size:           1
        .value_kind:     by_value
    .group_segment_fixed_size: 132
    .kernarg_segment_align: 8
    .kernarg_segment_size: 28
    .language:       OpenCL C
    .language_version:
      - 2
      - 0
    .max_flat_workgroup_size: 32
    .name:           _Z26sort_keys_values_segmentedILj32ELj32ELj1ELb0E12hip_bfloat16iN10test_utils4lessEEvPT3_PT4_PKjT5_
    .private_segment_fixed_size: 0
    .sgpr_count:     14
    .sgpr_spill_count: 0
    .symbol:         _Z26sort_keys_values_segmentedILj32ELj32ELj1ELb0E12hip_bfloat16iN10test_utils4lessEEvPT3_PT4_PKjT5_.kd
    .uniform_work_group_size: 1
    .uses_dynamic_stack: false
    .vgpr_count:     22
    .vgpr_spill_count: 0
    .wavefront_size: 64
  - .agpr_count:     0
    .args:
      - .address_space:  global
        .offset:         0
        .size:           8
        .value_kind:     global_buffer
      - .address_space:  global
        .offset:         8
        .size:           8
        .value_kind:     global_buffer
      - .address_space:  global
        .offset:         16
        .size:           8
        .value_kind:     global_buffer
      - .offset:         24
        .size:           1
        .value_kind:     by_value
    .group_segment_fixed_size: 132
    .kernarg_segment_align: 8
    .kernarg_segment_size: 28
    .language:       OpenCL C
    .language_version:
      - 2
      - 0
    .max_flat_workgroup_size: 32
    .name:           _Z26sort_keys_values_segmentedILj32ELj32ELj1ELb0E6__halfiN10test_utils4lessEEvPT3_PT4_PKjT5_
    .private_segment_fixed_size: 0
    .sgpr_count:     14
    .sgpr_spill_count: 0
    .symbol:         _Z26sort_keys_values_segmentedILj32ELj32ELj1ELb0E6__halfiN10test_utils4lessEEvPT3_PT4_PKjT5_.kd
    .uniform_work_group_size: 1
    .uses_dynamic_stack: false
    .vgpr_count:     22
    .vgpr_spill_count: 0
    .wavefront_size: 64
  - .agpr_count:     0
    .args:
      - .address_space:  global
        .offset:         0
        .size:           8
        .value_kind:     global_buffer
      - .address_space:  global
        .offset:         8
        .size:           8
        .value_kind:     global_buffer
      - .address_space:  global
        .offset:         16
        .size:           8
        .value_kind:     global_buffer
      - .offset:         24
        .size:           1
        .value_kind:     by_value
    .group_segment_fixed_size: 2080
    .kernarg_segment_align: 8
    .kernarg_segment_size: 28
    .language:       OpenCL C
    .language_version:
      - 2
      - 0
    .max_flat_workgroup_size: 512
    .name:           _Z26sort_keys_values_segmentedILj512ELj64ELj1ELb0EsiN10test_utils4lessEEvPT3_PT4_PKjT5_
    .private_segment_fixed_size: 0
    .sgpr_count:     11
    .sgpr_spill_count: 0
    .symbol:         _Z26sort_keys_values_segmentedILj512ELj64ELj1ELb0EsiN10test_utils4lessEEvPT3_PT4_PKjT5_.kd
    .uniform_work_group_size: 1
    .uses_dynamic_stack: false
    .vgpr_count:     24
    .vgpr_spill_count: 0
    .wavefront_size: 64
  - .agpr_count:     0
    .args:
      - .address_space:  global
        .offset:         0
        .size:           8
        .value_kind:     global_buffer
      - .address_space:  global
        .offset:         8
        .size:           8
        .value_kind:     global_buffer
      - .address_space:  global
        .offset:         16
        .size:           8
        .value_kind:     global_buffer
      - .offset:         24
        .size:           1
        .value_kind:     by_value
    .group_segment_fixed_size: 264
    .kernarg_segment_align: 8
    .kernarg_segment_size: 28
    .language:       OpenCL C
    .language_version:
      - 2
      - 0
    .max_flat_workgroup_size: 32
    .name:           _Z26sort_keys_values_segmentedILj32ELj32ELj1ELb0EdiN10test_utils4lessEEvPT3_PT4_PKjT5_
    .private_segment_fixed_size: 0
    .sgpr_count:     14
    .sgpr_spill_count: 0
    .symbol:         _Z26sort_keys_values_segmentedILj32ELj32ELj1ELb0EdiN10test_utils4lessEEvPT3_PT4_PKjT5_.kd
    .uniform_work_group_size: 1
    .uses_dynamic_stack: false
    .vgpr_count:     24
    .vgpr_spill_count: 0
    .wavefront_size: 64
  - .agpr_count:     0
    .args:
      - .address_space:  global
        .offset:         0
        .size:           8
        .value_kind:     global_buffer
      - .address_space:  global
        .offset:         8
        .size:           8
        .value_kind:     global_buffer
      - .address_space:  global
        .offset:         16
        .size:           8
        .value_kind:     global_buffer
      - .offset:         24
        .size:           1
        .value_kind:     by_value
    .group_segment_fixed_size: 272
    .kernarg_segment_align: 8
    .kernarg_segment_size: 28
    .language:       OpenCL C
    .language_version:
      - 2
      - 0
    .max_flat_workgroup_size: 64
    .name:           _Z26sort_keys_values_segmentedILj64ELj16ELj1ELb0EfcN10test_utils4lessEEvPT3_PT4_PKjT5_
    .private_segment_fixed_size: 0
    .sgpr_count:     11
    .sgpr_spill_count: 0
    .symbol:         _Z26sort_keys_values_segmentedILj64ELj16ELj1ELb0EfcN10test_utils4lessEEvPT3_PT4_PKjT5_.kd
    .uniform_work_group_size: 1
    .uses_dynamic_stack: false
    .vgpr_count:     24
    .vgpr_spill_count: 0
    .wavefront_size: 64
  - .agpr_count:     0
    .args:
      - .address_space:  global
        .offset:         0
        .size:           8
        .value_kind:     global_buffer
      - .address_space:  global
        .offset:         8
        .size:           8
        .value_kind:     global_buffer
      - .address_space:  global
        .offset:         16
        .size:           8
        .value_kind:     global_buffer
      - .offset:         24
        .size:           1
        .value_kind:     by_value
    .group_segment_fixed_size: 1536
    .kernarg_segment_align: 8
    .kernarg_segment_size: 28
    .language:       OpenCL C
    .language_version:
      - 2
      - 0
    .max_flat_workgroup_size: 256
    .name:           _Z26sort_keys_values_segmentedILj256ELj2ELj1ELb0EjiN10test_utils4lessEEvPT3_PT4_PKjT5_
    .private_segment_fixed_size: 0
    .sgpr_count:     11
    .sgpr_spill_count: 0
    .symbol:         _Z26sort_keys_values_segmentedILj256ELj2ELj1ELb0EjiN10test_utils4lessEEvPT3_PT4_PKjT5_.kd
    .uniform_work_group_size: 1
    .uses_dynamic_stack: false
    .vgpr_count:     20
    .vgpr_spill_count: 0
    .wavefront_size: 64
  - .agpr_count:     0
    .args:
      - .address_space:  global
        .offset:         0
        .size:           8
        .value_kind:     global_buffer
      - .offset:         8
        .size:           1
        .value_kind:     by_value
    .group_segment_fixed_size: 7200
    .kernarg_segment_align: 8
    .kernarg_segment_size: 12
    .language:       OpenCL C
    .language_version:
      - 2
      - 0
    .max_flat_workgroup_size: 256
    .name:           _Z14sort_keys_fullILj256ELj32ELj7ELb0EiN10test_utils7greaterEEvPT3_T4_
    .private_segment_fixed_size: 0
    .sgpr_count:     18
    .sgpr_spill_count: 0
    .symbol:         _Z14sort_keys_fullILj256ELj32ELj7ELb0EiN10test_utils7greaterEEvPT3_T4_.kd
    .uniform_work_group_size: 1
    .uses_dynamic_stack: false
    .vgpr_count:     26
    .vgpr_spill_count: 0
    .wavefront_size: 64
  - .agpr_count:     0
    .args:
      - .address_space:  global
        .offset:         0
        .size:           8
        .value_kind:     global_buffer
      - .offset:         8
        .size:           1
        .value_kind:     by_value
    .group_segment_fixed_size: 8448
    .kernarg_segment_align: 8
    .kernarg_segment_size: 12
    .language:       OpenCL C
    .language_version:
      - 2
      - 0
    .max_flat_workgroup_size: 256
    .name:           _Z14sort_keys_fullILj256ELj8ELj4ELb1ExN10test_utils4lessEEvPT3_T4_
    .private_segment_fixed_size: 0
    .sgpr_count:     12
    .sgpr_spill_count: 0
    .symbol:         _Z14sort_keys_fullILj256ELj8ELj4ELb1ExN10test_utils4lessEEvPT3_T4_.kd
    .uniform_work_group_size: 1
    .uses_dynamic_stack: false
    .vgpr_count:     32
    .vgpr_spill_count: 0
    .wavefront_size: 64
  - .agpr_count:     0
    .args:
      - .address_space:  global
        .offset:         0
        .size:           8
        .value_kind:     global_buffer
      - .offset:         8
        .size:           1
        .value_kind:     by_value
    .group_segment_fixed_size: 16448
    .kernarg_segment_align: 8
    .kernarg_segment_size: 12
    .language:       OpenCL C
    .language_version:
      - 2
      - 0
    .max_flat_workgroup_size: 256
    .name:           _Z14sort_keys_fullILj256ELj32ELj8ELb0EN10test_utils16custom_test_typeIfEENS0_4lessEEvPT3_T4_
    .private_segment_fixed_size: 0
    .sgpr_count:     27
    .sgpr_spill_count: 0
    .symbol:         _Z14sort_keys_fullILj256ELj32ELj8ELb0EN10test_utils16custom_test_typeIfEENS0_4lessEEvPT3_T4_.kd
    .uniform_work_group_size: 1
    .uses_dynamic_stack: false
    .vgpr_count:     43
    .vgpr_spill_count: 0
    .wavefront_size: 64
  - .agpr_count:     0
    .args:
      - .address_space:  global
        .offset:         0
        .size:           8
        .value_kind:     global_buffer
      - .offset:         8
        .size:           1
        .value_kind:     by_value
    .group_segment_fixed_size: 8256
    .kernarg_segment_align: 8
    .kernarg_segment_size: 12
    .language:       OpenCL C
    .language_version:
      - 2
      - 0
    .max_flat_workgroup_size: 256
    .name:           _Z14sort_keys_fullILj256ELj32ELj4ELb0EN10test_utils16custom_test_typeIfEENS0_4lessEEvPT3_T4_
    .private_segment_fixed_size: 0
    .sgpr_count:     18
    .sgpr_spill_count: 0
    .symbol:         _Z14sort_keys_fullILj256ELj32ELj4ELb0EN10test_utils16custom_test_typeIfEENS0_4lessEEvPT3_T4_.kd
    .uniform_work_group_size: 1
    .uses_dynamic_stack: false
    .vgpr_count:     28
    .vgpr_spill_count: 0
    .wavefront_size: 64
  - .agpr_count:     0
    .args:
      - .address_space:  global
        .offset:         0
        .size:           8
        .value_kind:     global_buffer
      - .offset:         8
        .size:           1
        .value_kind:     by_value
    .group_segment_fixed_size: 4160
    .kernarg_segment_align: 8
    .kernarg_segment_size: 12
    .language:       OpenCL C
    .language_version:
      - 2
      - 0
    .max_flat_workgroup_size: 256
    .name:           _Z14sort_keys_fullILj256ELj32ELj2ELb0EN10test_utils16custom_test_typeIfEENS0_4lessEEvPT3_T4_
    .private_segment_fixed_size: 0
    .sgpr_count:     16
    .sgpr_spill_count: 0
    .symbol:         _Z14sort_keys_fullILj256ELj32ELj2ELb0EN10test_utils16custom_test_typeIfEENS0_4lessEEvPT3_T4_.kd
    .uniform_work_group_size: 1
    .uses_dynamic_stack: false
    .vgpr_count:     22
    .vgpr_spill_count: 0
    .wavefront_size: 64
  - .agpr_count:     0
    .args:
      - .address_space:  global
        .offset:         0
        .size:           8
        .value_kind:     global_buffer
      - .offset:         8
        .size:           1
        .value_kind:     by_value
    .group_segment_fixed_size: 66
    .kernarg_segment_align: 8
    .kernarg_segment_size: 12
    .language:       OpenCL C
    .language_version:
      - 2
      - 0
    .max_flat_workgroup_size: 32
    .name:           _Z14sort_keys_fullILj32ELj32ELj1ELb0E12hip_bfloat16N10test_utils4lessEEvPT3_T4_
    .private_segment_fixed_size: 0
    .sgpr_count:     11
    .sgpr_spill_count: 0
    .symbol:         _Z14sort_keys_fullILj32ELj32ELj1ELb0E12hip_bfloat16N10test_utils4lessEEvPT3_T4_.kd
    .uniform_work_group_size: 1
    .uses_dynamic_stack: false
    .vgpr_count:     17
    .vgpr_spill_count: 0
    .wavefront_size: 64
  - .agpr_count:     0
    .args:
      - .address_space:  global
        .offset:         0
        .size:           8
        .value_kind:     global_buffer
      - .offset:         8
        .size:           1
        .value_kind:     by_value
    .group_segment_fixed_size: 66
    .kernarg_segment_align: 8
    .kernarg_segment_size: 12
    .language:       OpenCL C
    .language_version:
      - 2
      - 0
    .max_flat_workgroup_size: 32
    .name:           _Z14sort_keys_fullILj32ELj32ELj1ELb0E6__halfN10test_utils4lessEEvPT3_T4_
    .private_segment_fixed_size: 0
    .sgpr_count:     11
    .sgpr_spill_count: 0
    .symbol:         _Z14sort_keys_fullILj32ELj32ELj1ELb0E6__halfN10test_utils4lessEEvPT3_T4_.kd
    .uniform_work_group_size: 1
    .uses_dynamic_stack: false
    .vgpr_count:     17
    .vgpr_spill_count: 0
    .wavefront_size: 64
  - .agpr_count:     0
    .args:
      - .address_space:  global
        .offset:         0
        .size:           8
        .value_kind:     global_buffer
      - .offset:         8
        .size:           1
        .value_kind:     by_value
    .group_segment_fixed_size: 1040
    .kernarg_segment_align: 8
    .kernarg_segment_size: 12
    .language:       OpenCL C
    .language_version:
      - 2
      - 0
    .max_flat_workgroup_size: 512
    .name:           _Z14sort_keys_fullILj512ELj64ELj1ELb0EsN10test_utils4lessEEvPT3_T4_
    .private_segment_fixed_size: 0
    .sgpr_count:     11
    .sgpr_spill_count: 0
    .symbol:         _Z14sort_keys_fullILj512ELj64ELj1ELb0EsN10test_utils4lessEEvPT3_T4_.kd
    .uniform_work_group_size: 1
    .uses_dynamic_stack: false
    .vgpr_count:     17
    .vgpr_spill_count: 0
    .wavefront_size: 64
  - .agpr_count:     0
    .args:
      - .address_space:  global
        .offset:         0
        .size:           8
        .value_kind:     global_buffer
      - .offset:         8
        .size:           1
        .value_kind:     by_value
    .group_segment_fixed_size: 264
    .kernarg_segment_align: 8
    .kernarg_segment_size: 12
    .language:       OpenCL C
    .language_version:
      - 2
      - 0
    .max_flat_workgroup_size: 32
    .name:           _Z14sort_keys_fullILj32ELj32ELj1ELb0EdN10test_utils4lessEEvPT3_T4_
    .private_segment_fixed_size: 0
    .sgpr_count:     11
    .sgpr_spill_count: 0
    .symbol:         _Z14sort_keys_fullILj32ELj32ELj1ELb0EdN10test_utils4lessEEvPT3_T4_.kd
    .uniform_work_group_size: 1
    .uses_dynamic_stack: false
    .vgpr_count:     19
    .vgpr_spill_count: 0
    .wavefront_size: 64
  - .agpr_count:     0
    .args:
      - .address_space:  global
        .offset:         0
        .size:           8
        .value_kind:     global_buffer
      - .offset:         8
        .size:           1
        .value_kind:     by_value
    .group_segment_fixed_size: 272
    .kernarg_segment_align: 8
    .kernarg_segment_size: 12
    .language:       OpenCL C
    .language_version:
      - 2
      - 0
    .max_flat_workgroup_size: 64
    .name:           _Z14sort_keys_fullILj64ELj16ELj1ELb0EfN10test_utils4lessEEvPT3_T4_
    .private_segment_fixed_size: 0
    .sgpr_count:     11
    .sgpr_spill_count: 0
    .symbol:         _Z14sort_keys_fullILj64ELj16ELj1ELb0EfN10test_utils4lessEEvPT3_T4_.kd
    .uniform_work_group_size: 1
    .uses_dynamic_stack: false
    .vgpr_count:     18
    .vgpr_spill_count: 0
    .wavefront_size: 64
  - .agpr_count:     0
    .args:
      - .address_space:  global
        .offset:         0
        .size:           8
        .value_kind:     global_buffer
      - .offset:         8
        .size:           1
        .value_kind:     by_value
    .group_segment_fixed_size: 1536
    .kernarg_segment_align: 8
    .kernarg_segment_size: 12
    .language:       OpenCL C
    .language_version:
      - 2
      - 0
    .max_flat_workgroup_size: 256
    .name:           _Z14sort_keys_fullILj256ELj2ELj1ELb0EjN10test_utils4lessEEvPT3_T4_
    .private_segment_fixed_size: 0
    .sgpr_count:     11
    .sgpr_spill_count: 0
    .symbol:         _Z14sort_keys_fullILj256ELj2ELj1ELb0EjN10test_utils4lessEEvPT3_T4_.kd
    .uniform_work_group_size: 1
    .uses_dynamic_stack: false
    .vgpr_count:     11
    .vgpr_spill_count: 0
    .wavefront_size: 64
  - .agpr_count:     0
    .args:
      - .address_space:  global
        .offset:         0
        .size:           8
        .value_kind:     global_buffer
      - .address_space:  global
        .offset:         8
        .size:           8
        .value_kind:     global_buffer
      - .offset:         16
        .size:           1
        .value_kind:     by_value
    .group_segment_fixed_size: 7200
    .kernarg_segment_align: 8
    .kernarg_segment_size: 20
    .language:       OpenCL C
    .language_version:
      - 2
      - 0
    .max_flat_workgroup_size: 256
    .name:           _Z21sort_keys_values_fullILj256ELj32ELj7ELb0EiN10test_utils16custom_test_typeIsEENS0_7greaterEEvPT3_PT4_T5_
    .private_segment_fixed_size: 0
    .sgpr_count:     24
    .sgpr_spill_count: 0
    .symbol:         _Z21sort_keys_values_fullILj256ELj32ELj7ELb0EiN10test_utils16custom_test_typeIsEENS0_7greaterEEvPT3_PT4_T5_.kd
    .uniform_work_group_size: 1
    .uses_dynamic_stack: false
    .vgpr_count:     45
    .vgpr_spill_count: 0
    .wavefront_size: 64
  - .agpr_count:     0
    .args:
      - .address_space:  global
        .offset:         0
        .size:           8
        .value_kind:     global_buffer
      - .address_space:  global
        .offset:         8
        .size:           8
        .value_kind:     global_buffer
      - .offset:         16
        .size:           1
        .value_kind:     by_value
    .group_segment_fixed_size: 8448
    .kernarg_segment_align: 8
    .kernarg_segment_size: 20
    .language:       OpenCL C
    .language_version:
      - 2
      - 0
    .max_flat_workgroup_size: 256
    .name:           _Z21sort_keys_values_fullILj256ELj8ELj4ELb1ExsN10test_utils4lessEEvPT3_PT4_T5_
    .private_segment_fixed_size: 0
    .sgpr_count:     14
    .sgpr_spill_count: 0
    .symbol:         _Z21sort_keys_values_fullILj256ELj8ELj4ELb1ExsN10test_utils4lessEEvPT3_PT4_T5_.kd
    .uniform_work_group_size: 1
    .uses_dynamic_stack: false
    .vgpr_count:     52
    .vgpr_spill_count: 0
    .wavefront_size: 64
  - .agpr_count:     0
    .args:
      - .address_space:  global
        .offset:         0
        .size:           8
        .value_kind:     global_buffer
      - .address_space:  global
        .offset:         8
        .size:           8
        .value_kind:     global_buffer
      - .offset:         16
        .size:           1
        .value_kind:     by_value
    .group_segment_fixed_size: 16448
    .kernarg_segment_align: 8
    .kernarg_segment_size: 20
    .language:       OpenCL C
    .language_version:
      - 2
      - 0
    .max_flat_workgroup_size: 256
    .name:           _Z21sort_keys_values_fullILj256ELj32ELj8ELb0EN10test_utils16custom_test_typeIfEEiNS0_4lessEEvPT3_PT4_T5_
    .private_segment_fixed_size: 0
    .sgpr_count:     84
    .sgpr_spill_count: 0
    .symbol:         _Z21sort_keys_values_fullILj256ELj32ELj8ELb0EN10test_utils16custom_test_typeIfEEiNS0_4lessEEvPT3_PT4_T5_.kd
    .uniform_work_group_size: 1
    .uses_dynamic_stack: false
    .vgpr_count:     67
    .vgpr_spill_count: 0
    .wavefront_size: 64
  - .agpr_count:     0
    .args:
      - .address_space:  global
        .offset:         0
        .size:           8
        .value_kind:     global_buffer
      - .address_space:  global
        .offset:         8
        .size:           8
        .value_kind:     global_buffer
      - .offset:         16
        .size:           1
        .value_kind:     by_value
    .group_segment_fixed_size: 8256
    .kernarg_segment_align: 8
    .kernarg_segment_size: 20
    .language:       OpenCL C
    .language_version:
      - 2
      - 0
    .max_flat_workgroup_size: 256
    .name:           _Z21sort_keys_values_fullILj256ELj32ELj4ELb0EN10test_utils16custom_test_typeIfEEiNS0_4lessEEvPT3_PT4_T5_
    .private_segment_fixed_size: 0
    .sgpr_count:     30
    .sgpr_spill_count: 0
    .symbol:         _Z21sort_keys_values_fullILj256ELj32ELj4ELb0EN10test_utils16custom_test_typeIfEEiNS0_4lessEEvPT3_PT4_T5_.kd
    .uniform_work_group_size: 1
    .uses_dynamic_stack: false
    .vgpr_count:     39
    .vgpr_spill_count: 0
    .wavefront_size: 64
  - .agpr_count:     0
    .args:
      - .address_space:  global
        .offset:         0
        .size:           8
        .value_kind:     global_buffer
      - .address_space:  global
        .offset:         8
        .size:           8
        .value_kind:     global_buffer
      - .offset:         16
        .size:           1
        .value_kind:     by_value
    .group_segment_fixed_size: 4160
    .kernarg_segment_align: 8
    .kernarg_segment_size: 20
    .language:       OpenCL C
    .language_version:
      - 2
      - 0
    .max_flat_workgroup_size: 256
    .name:           _Z21sort_keys_values_fullILj256ELj32ELj2ELb0EN10test_utils16custom_test_typeIfEEyNS0_4lessEEvPT3_PT4_T5_
    .private_segment_fixed_size: 0
    .sgpr_count:     18
    .sgpr_spill_count: 0
    .symbol:         _Z21sort_keys_values_fullILj256ELj32ELj2ELb0EN10test_utils16custom_test_typeIfEEyNS0_4lessEEvPT3_PT4_T5_.kd
    .uniform_work_group_size: 1
    .uses_dynamic_stack: false
    .vgpr_count:     28
    .vgpr_spill_count: 0
    .wavefront_size: 64
  - .agpr_count:     0
    .args:
      - .address_space:  global
        .offset:         0
        .size:           8
        .value_kind:     global_buffer
      - .address_space:  global
        .offset:         8
        .size:           8
        .value_kind:     global_buffer
      - .offset:         16
        .size:           1
        .value_kind:     by_value
    .group_segment_fixed_size: 132
    .kernarg_segment_align: 8
    .kernarg_segment_size: 20
    .language:       OpenCL C
    .language_version:
      - 2
      - 0
    .max_flat_workgroup_size: 32
    .name:           _Z21sort_keys_values_fullILj32ELj32ELj1ELb0E12hip_bfloat16iN10test_utils4lessEEvPT3_PT4_T5_
    .private_segment_fixed_size: 0
    .sgpr_count:     12
    .sgpr_spill_count: 0
    .symbol:         _Z21sort_keys_values_fullILj32ELj32ELj1ELb0E12hip_bfloat16iN10test_utils4lessEEvPT3_PT4_T5_.kd
    .uniform_work_group_size: 1
    .uses_dynamic_stack: false
    .vgpr_count:     21
    .vgpr_spill_count: 0
    .wavefront_size: 64
  - .agpr_count:     0
    .args:
      - .address_space:  global
        .offset:         0
        .size:           8
        .value_kind:     global_buffer
      - .address_space:  global
        .offset:         8
        .size:           8
        .value_kind:     global_buffer
      - .offset:         16
        .size:           1
        .value_kind:     by_value
    .group_segment_fixed_size: 132
    .kernarg_segment_align: 8
    .kernarg_segment_size: 20
    .language:       OpenCL C
    .language_version:
      - 2
      - 0
    .max_flat_workgroup_size: 32
    .name:           _Z21sort_keys_values_fullILj32ELj32ELj1ELb0E6__halfiN10test_utils4lessEEvPT3_PT4_T5_
    .private_segment_fixed_size: 0
    .sgpr_count:     12
    .sgpr_spill_count: 0
    .symbol:         _Z21sort_keys_values_fullILj32ELj32ELj1ELb0E6__halfiN10test_utils4lessEEvPT3_PT4_T5_.kd
    .uniform_work_group_size: 1
    .uses_dynamic_stack: false
    .vgpr_count:     21
    .vgpr_spill_count: 0
    .wavefront_size: 64
  - .agpr_count:     0
    .args:
      - .address_space:  global
        .offset:         0
        .size:           8
        .value_kind:     global_buffer
      - .address_space:  global
        .offset:         8
        .size:           8
        .value_kind:     global_buffer
      - .offset:         16
        .size:           1
        .value_kind:     by_value
    .group_segment_fixed_size: 2080
    .kernarg_segment_align: 8
    .kernarg_segment_size: 20
    .language:       OpenCL C
    .language_version:
      - 2
      - 0
    .max_flat_workgroup_size: 512
    .name:           _Z21sort_keys_values_fullILj512ELj64ELj1ELb0EsiN10test_utils4lessEEvPT3_PT4_T5_
    .private_segment_fixed_size: 0
    .sgpr_count:     12
    .sgpr_spill_count: 0
    .symbol:         _Z21sort_keys_values_fullILj512ELj64ELj1ELb0EsiN10test_utils4lessEEvPT3_PT4_T5_.kd
    .uniform_work_group_size: 1
    .uses_dynamic_stack: false
    .vgpr_count:     21
    .vgpr_spill_count: 0
    .wavefront_size: 64
  - .agpr_count:     0
    .args:
      - .address_space:  global
        .offset:         0
        .size:           8
        .value_kind:     global_buffer
      - .address_space:  global
        .offset:         8
        .size:           8
        .value_kind:     global_buffer
      - .offset:         16
        .size:           1
        .value_kind:     by_value
    .group_segment_fixed_size: 264
    .kernarg_segment_align: 8
    .kernarg_segment_size: 20
    .language:       OpenCL C
    .language_version:
      - 2
      - 0
    .max_flat_workgroup_size: 32
    .name:           _Z21sort_keys_values_fullILj32ELj32ELj1ELb0EdiN10test_utils4lessEEvPT3_PT4_T5_
    .private_segment_fixed_size: 0
    .sgpr_count:     12
    .sgpr_spill_count: 0
    .symbol:         _Z21sort_keys_values_fullILj32ELj32ELj1ELb0EdiN10test_utils4lessEEvPT3_PT4_T5_.kd
    .uniform_work_group_size: 1
    .uses_dynamic_stack: false
    .vgpr_count:     23
    .vgpr_spill_count: 0
    .wavefront_size: 64
  - .agpr_count:     0
    .args:
      - .address_space:  global
        .offset:         0
        .size:           8
        .value_kind:     global_buffer
      - .address_space:  global
        .offset:         8
        .size:           8
        .value_kind:     global_buffer
      - .offset:         16
        .size:           1
        .value_kind:     by_value
    .group_segment_fixed_size: 272
    .kernarg_segment_align: 8
    .kernarg_segment_size: 20
    .language:       OpenCL C
    .language_version:
      - 2
      - 0
    .max_flat_workgroup_size: 64
    .name:           _Z21sort_keys_values_fullILj64ELj16ELj1ELb0EfcN10test_utils4lessEEvPT3_PT4_T5_
    .private_segment_fixed_size: 0
    .sgpr_count:     12
    .sgpr_spill_count: 0
    .symbol:         _Z21sort_keys_values_fullILj64ELj16ELj1ELb0EfcN10test_utils4lessEEvPT3_PT4_T5_.kd
    .uniform_work_group_size: 1
    .uses_dynamic_stack: false
    .vgpr_count:     22
    .vgpr_spill_count: 0
    .wavefront_size: 64
  - .agpr_count:     0
    .args:
      - .address_space:  global
        .offset:         0
        .size:           8
        .value_kind:     global_buffer
      - .address_space:  global
        .offset:         8
        .size:           8
        .value_kind:     global_buffer
      - .offset:         16
        .size:           1
        .value_kind:     by_value
    .group_segment_fixed_size: 1536
    .kernarg_segment_align: 8
    .kernarg_segment_size: 20
    .language:       OpenCL C
    .language_version:
      - 2
      - 0
    .max_flat_workgroup_size: 256
    .name:           _Z21sort_keys_values_fullILj256ELj2ELj1ELb0EjiN10test_utils4lessEEvPT3_PT4_T5_
    .private_segment_fixed_size: 0
    .sgpr_count:     11
    .sgpr_spill_count: 0
    .symbol:         _Z21sort_keys_values_fullILj256ELj2ELj1ELb0EjiN10test_utils4lessEEvPT3_PT4_T5_.kd
    .uniform_work_group_size: 1
    .uses_dynamic_stack: false
    .vgpr_count:     15
    .vgpr_spill_count: 0
    .wavefront_size: 64
amdhsa.target:   amdgcn-amd-amdhsa--gfx90a
amdhsa.version:
  - 1
  - 2
...

	.end_amdgpu_metadata
